;; amdgpu-corpus repo=ROCm/rocFFT kind=compiled arch=gfx1030 opt=O3
	.text
	.amdgcn_target "amdgcn-amd-amdhsa--gfx1030"
	.amdhsa_code_object_version 6
	.protected	fft_rtc_back_len4050_factors_10_5_3_3_3_3_wgs_135_tpt_135_halfLds_half_op_CI_CI_unitstride_sbrr_dirReg ; -- Begin function fft_rtc_back_len4050_factors_10_5_3_3_3_3_wgs_135_tpt_135_halfLds_half_op_CI_CI_unitstride_sbrr_dirReg
	.globl	fft_rtc_back_len4050_factors_10_5_3_3_3_3_wgs_135_tpt_135_halfLds_half_op_CI_CI_unitstride_sbrr_dirReg
	.p2align	8
	.type	fft_rtc_back_len4050_factors_10_5_3_3_3_3_wgs_135_tpt_135_halfLds_half_op_CI_CI_unitstride_sbrr_dirReg,@function
fft_rtc_back_len4050_factors_10_5_3_3_3_3_wgs_135_tpt_135_halfLds_half_op_CI_CI_unitstride_sbrr_dirReg: ; @fft_rtc_back_len4050_factors_10_5_3_3_3_3_wgs_135_tpt_135_halfLds_half_op_CI_CI_unitstride_sbrr_dirReg
; %bb.0:
	s_clause 0x2
	s_load_dwordx4 s[12:15], s[4:5], 0x0
	s_load_dwordx4 s[8:11], s[4:5], 0x58
	;; [unrolled: 1-line block ×3, first 2 shown]
	v_mul_u32_u24_e32 v1, 0x1e6, v0
	v_mov_b32_e32 v7, 0
	v_mov_b32_e32 v5, 0
	;; [unrolled: 1-line block ×3, first 2 shown]
	v_add_nc_u32_sdwa v9, s6, v1 dst_sel:DWORD dst_unused:UNUSED_PAD src0_sel:DWORD src1_sel:WORD_1
	v_mov_b32_e32 v10, v7
	s_waitcnt lgkmcnt(0)
	v_cmp_lt_u64_e64 s0, s[14:15], 2
	s_and_b32 vcc_lo, exec_lo, s0
	s_cbranch_vccnz .LBB0_8
; %bb.1:
	s_load_dwordx2 s[0:1], s[4:5], 0x10
	v_mov_b32_e32 v5, 0
	v_mov_b32_e32 v6, 0
	s_add_u32 s2, s18, 8
	s_addc_u32 s3, s19, 0
	v_mov_b32_e32 v1, v5
	s_add_u32 s6, s16, 8
	v_mov_b32_e32 v2, v6
	s_addc_u32 s7, s17, 0
	s_mov_b64 s[22:23], 1
	s_waitcnt lgkmcnt(0)
	s_add_u32 s20, s0, 8
	s_addc_u32 s21, s1, 0
.LBB0_2:                                ; =>This Inner Loop Header: Depth=1
	s_load_dwordx2 s[24:25], s[20:21], 0x0
                                        ; implicit-def: $vgpr3_vgpr4
	s_mov_b32 s0, exec_lo
	s_waitcnt lgkmcnt(0)
	v_or_b32_e32 v8, s25, v10
	v_cmpx_ne_u64_e32 0, v[7:8]
	s_xor_b32 s1, exec_lo, s0
	s_cbranch_execz .LBB0_4
; %bb.3:                                ;   in Loop: Header=BB0_2 Depth=1
	v_cvt_f32_u32_e32 v3, s24
	v_cvt_f32_u32_e32 v4, s25
	s_sub_u32 s0, 0, s24
	s_subb_u32 s26, 0, s25
	v_fmac_f32_e32 v3, 0x4f800000, v4
	v_rcp_f32_e32 v3, v3
	v_mul_f32_e32 v3, 0x5f7ffffc, v3
	v_mul_f32_e32 v4, 0x2f800000, v3
	v_trunc_f32_e32 v4, v4
	v_fmac_f32_e32 v3, 0xcf800000, v4
	v_cvt_u32_f32_e32 v4, v4
	v_cvt_u32_f32_e32 v3, v3
	v_mul_lo_u32 v8, s0, v4
	v_mul_hi_u32 v11, s0, v3
	v_mul_lo_u32 v12, s26, v3
	v_add_nc_u32_e32 v8, v11, v8
	v_mul_lo_u32 v11, s0, v3
	v_add_nc_u32_e32 v8, v8, v12
	v_mul_hi_u32 v12, v3, v11
	v_mul_lo_u32 v13, v3, v8
	v_mul_hi_u32 v14, v3, v8
	v_mul_hi_u32 v15, v4, v11
	v_mul_lo_u32 v11, v4, v11
	v_mul_hi_u32 v16, v4, v8
	v_mul_lo_u32 v8, v4, v8
	v_add_co_u32 v12, vcc_lo, v12, v13
	v_add_co_ci_u32_e32 v13, vcc_lo, 0, v14, vcc_lo
	v_add_co_u32 v11, vcc_lo, v12, v11
	v_add_co_ci_u32_e32 v11, vcc_lo, v13, v15, vcc_lo
	v_add_co_ci_u32_e32 v12, vcc_lo, 0, v16, vcc_lo
	v_add_co_u32 v8, vcc_lo, v11, v8
	v_add_co_ci_u32_e32 v11, vcc_lo, 0, v12, vcc_lo
	v_add_co_u32 v3, vcc_lo, v3, v8
	v_add_co_ci_u32_e32 v4, vcc_lo, v4, v11, vcc_lo
	v_mul_hi_u32 v8, s0, v3
	v_mul_lo_u32 v12, s26, v3
	v_mul_lo_u32 v11, s0, v4
	v_add_nc_u32_e32 v8, v8, v11
	v_mul_lo_u32 v11, s0, v3
	v_add_nc_u32_e32 v8, v8, v12
	v_mul_hi_u32 v12, v3, v11
	v_mul_lo_u32 v13, v3, v8
	v_mul_hi_u32 v14, v3, v8
	v_mul_hi_u32 v15, v4, v11
	v_mul_lo_u32 v11, v4, v11
	v_mul_hi_u32 v16, v4, v8
	v_mul_lo_u32 v8, v4, v8
	v_add_co_u32 v12, vcc_lo, v12, v13
	v_add_co_ci_u32_e32 v13, vcc_lo, 0, v14, vcc_lo
	v_add_co_u32 v11, vcc_lo, v12, v11
	v_add_co_ci_u32_e32 v11, vcc_lo, v13, v15, vcc_lo
	v_add_co_ci_u32_e32 v12, vcc_lo, 0, v16, vcc_lo
	v_add_co_u32 v8, vcc_lo, v11, v8
	v_add_co_ci_u32_e32 v11, vcc_lo, 0, v12, vcc_lo
	v_add_co_u32 v8, vcc_lo, v3, v8
	v_add_co_ci_u32_e32 v13, vcc_lo, v4, v11, vcc_lo
	v_mul_hi_u32 v15, v9, v8
	v_mad_u64_u32 v[11:12], null, v10, v8, 0
	v_mad_u64_u32 v[3:4], null, v9, v13, 0
	;; [unrolled: 1-line block ×3, first 2 shown]
	v_add_co_u32 v3, vcc_lo, v15, v3
	v_add_co_ci_u32_e32 v4, vcc_lo, 0, v4, vcc_lo
	v_add_co_u32 v3, vcc_lo, v3, v11
	v_add_co_ci_u32_e32 v3, vcc_lo, v4, v12, vcc_lo
	v_add_co_ci_u32_e32 v4, vcc_lo, 0, v14, vcc_lo
	v_add_co_u32 v8, vcc_lo, v3, v13
	v_add_co_ci_u32_e32 v11, vcc_lo, 0, v4, vcc_lo
	v_mul_lo_u32 v12, s25, v8
	v_mad_u64_u32 v[3:4], null, s24, v8, 0
	v_mul_lo_u32 v13, s24, v11
	v_sub_co_u32 v3, vcc_lo, v9, v3
	v_add3_u32 v4, v4, v13, v12
	v_sub_nc_u32_e32 v12, v10, v4
	v_subrev_co_ci_u32_e64 v12, s0, s25, v12, vcc_lo
	v_add_co_u32 v13, s0, v8, 2
	v_add_co_ci_u32_e64 v14, s0, 0, v11, s0
	v_sub_co_u32 v15, s0, v3, s24
	v_sub_co_ci_u32_e32 v4, vcc_lo, v10, v4, vcc_lo
	v_subrev_co_ci_u32_e64 v12, s0, 0, v12, s0
	v_cmp_le_u32_e32 vcc_lo, s24, v15
	v_cmp_eq_u32_e64 s0, s25, v4
	v_cndmask_b32_e64 v15, 0, -1, vcc_lo
	v_cmp_le_u32_e32 vcc_lo, s25, v12
	v_cndmask_b32_e64 v16, 0, -1, vcc_lo
	v_cmp_le_u32_e32 vcc_lo, s24, v3
	;; [unrolled: 2-line block ×3, first 2 shown]
	v_cndmask_b32_e64 v17, 0, -1, vcc_lo
	v_cmp_eq_u32_e32 vcc_lo, s25, v12
	v_cndmask_b32_e64 v3, v17, v3, s0
	v_cndmask_b32_e32 v12, v16, v15, vcc_lo
	v_add_co_u32 v15, vcc_lo, v8, 1
	v_add_co_ci_u32_e32 v16, vcc_lo, 0, v11, vcc_lo
	v_cmp_ne_u32_e32 vcc_lo, 0, v12
	v_cndmask_b32_e32 v4, v16, v14, vcc_lo
	v_cndmask_b32_e32 v12, v15, v13, vcc_lo
	v_cmp_ne_u32_e32 vcc_lo, 0, v3
	v_cndmask_b32_e32 v4, v11, v4, vcc_lo
	v_cndmask_b32_e32 v3, v8, v12, vcc_lo
.LBB0_4:                                ;   in Loop: Header=BB0_2 Depth=1
	s_andn2_saveexec_b32 s0, s1
	s_cbranch_execz .LBB0_6
; %bb.5:                                ;   in Loop: Header=BB0_2 Depth=1
	v_cvt_f32_u32_e32 v3, s24
	s_sub_i32 s1, 0, s24
	v_rcp_iflag_f32_e32 v3, v3
	v_mul_f32_e32 v3, 0x4f7ffffe, v3
	v_cvt_u32_f32_e32 v3, v3
	v_mul_lo_u32 v4, s1, v3
	v_mul_hi_u32 v4, v3, v4
	v_add_nc_u32_e32 v3, v3, v4
	v_mul_hi_u32 v3, v9, v3
	v_mul_lo_u32 v4, v3, s24
	v_add_nc_u32_e32 v8, 1, v3
	v_sub_nc_u32_e32 v4, v9, v4
	v_subrev_nc_u32_e32 v11, s24, v4
	v_cmp_le_u32_e32 vcc_lo, s24, v4
	v_cndmask_b32_e32 v4, v4, v11, vcc_lo
	v_cndmask_b32_e32 v3, v3, v8, vcc_lo
	v_cmp_le_u32_e32 vcc_lo, s24, v4
	v_add_nc_u32_e32 v8, 1, v3
	v_mov_b32_e32 v4, v7
	v_cndmask_b32_e32 v3, v3, v8, vcc_lo
.LBB0_6:                                ;   in Loop: Header=BB0_2 Depth=1
	s_or_b32 exec_lo, exec_lo, s0
	v_mul_lo_u32 v8, v4, s24
	v_mul_lo_u32 v13, v3, s25
	s_load_dwordx2 s[0:1], s[6:7], 0x0
	v_mad_u64_u32 v[11:12], null, v3, s24, 0
	s_load_dwordx2 s[24:25], s[2:3], 0x0
	s_add_u32 s22, s22, 1
	s_addc_u32 s23, s23, 0
	s_add_u32 s2, s2, 8
	s_addc_u32 s3, s3, 0
	s_add_u32 s6, s6, 8
	v_add3_u32 v8, v12, v13, v8
	v_sub_co_u32 v9, vcc_lo, v9, v11
	s_addc_u32 s7, s7, 0
	s_add_u32 s20, s20, 8
	v_sub_co_ci_u32_e32 v8, vcc_lo, v10, v8, vcc_lo
	s_addc_u32 s21, s21, 0
	s_waitcnt lgkmcnt(0)
	v_mul_lo_u32 v10, s0, v8
	v_mul_lo_u32 v11, s1, v9
	v_mad_u64_u32 v[5:6], null, s0, v9, v[5:6]
	v_mul_lo_u32 v8, s24, v8
	v_mul_lo_u32 v12, s25, v9
	v_mad_u64_u32 v[1:2], null, s24, v9, v[1:2]
	v_cmp_ge_u64_e64 s0, s[22:23], s[14:15]
	v_add3_u32 v6, v11, v6, v10
	v_add3_u32 v2, v12, v2, v8
	s_and_b32 vcc_lo, exec_lo, s0
	s_cbranch_vccnz .LBB0_9
; %bb.7:                                ;   in Loop: Header=BB0_2 Depth=1
	v_mov_b32_e32 v10, v4
	v_mov_b32_e32 v9, v3
	s_branch .LBB0_2
.LBB0_8:
	v_mov_b32_e32 v1, v5
	v_mov_b32_e32 v3, v9
	;; [unrolled: 1-line block ×4, first 2 shown]
.LBB0_9:
	s_load_dwordx2 s[0:1], s[4:5], 0x28
	v_mul_hi_u32 v68, 0x1e573ad, v0
	s_lshl_b64 s[4:5], s[14:15], 3
                                        ; implicit-def: $vgpr31
	s_add_u32 s2, s18, s4
	s_addc_u32 s3, s19, s5
	s_waitcnt lgkmcnt(0)
	v_cmp_gt_u64_e32 vcc_lo, s[0:1], v[3:4]
	v_cmp_le_u64_e64 s0, s[0:1], v[3:4]
	s_and_saveexec_b32 s1, s0
	s_xor_b32 s0, exec_lo, s1
; %bb.10:
	v_mul_u32_u24_e32 v5, 0x87, v68
                                        ; implicit-def: $vgpr68
	v_sub_nc_u32_e32 v31, v0, v5
                                        ; implicit-def: $vgpr0
                                        ; implicit-def: $vgpr5_vgpr6
; %bb.11:
	s_or_saveexec_b32 s1, s0
                                        ; implicit-def: $vgpr11
                                        ; implicit-def: $vgpr15
                                        ; implicit-def: $vgpr22
                                        ; implicit-def: $vgpr25
                                        ; implicit-def: $vgpr16
                                        ; implicit-def: $vgpr13
                                        ; implicit-def: $vgpr23
                                        ; implicit-def: $vgpr20
                                        ; implicit-def: $vgpr17
                                        ; implicit-def: $vgpr14
                                        ; implicit-def: $vgpr24
                                        ; implicit-def: $vgpr19
                                        ; implicit-def: $vgpr18
                                        ; implicit-def: $vgpr12
                                        ; implicit-def: $vgpr26
                                        ; implicit-def: $vgpr21
                                        ; implicit-def: $vgpr10
                                        ; implicit-def: $vgpr8
                                        ; implicit-def: $vgpr9
                                        ; implicit-def: $vgpr7
                                        ; implicit-def: $vgpr42
                                        ; implicit-def: $vgpr38
                                        ; implicit-def: $vgpr61
                                        ; implicit-def: $vgpr55
                                        ; implicit-def: $vgpr46
                                        ; implicit-def: $vgpr37
                                        ; implicit-def: $vgpr62
                                        ; implicit-def: $vgpr51
                                        ; implicit-def: $vgpr47
                                        ; implicit-def: $vgpr34
                                        ; implicit-def: $vgpr63
                                        ; implicit-def: $vgpr49
                                        ; implicit-def: $vgpr48
                                        ; implicit-def: $vgpr32
                                        ; implicit-def: $vgpr64
                                        ; implicit-def: $vgpr53
                                        ; implicit-def: $vgpr39
                                        ; implicit-def: $vgpr28
                                        ; implicit-def: $vgpr29
                                        ; implicit-def: $vgpr27
                                        ; implicit-def: $vgpr45
                                        ; implicit-def: $vgpr35
                                        ; implicit-def: $vgpr60
                                        ; implicit-def: $vgpr58
                                        ; implicit-def: $vgpr50
                                        ; implicit-def: $vgpr36
                                        ; implicit-def: $vgpr65
                                        ; implicit-def: $vgpr56
                                        ; implicit-def: $vgpr52
                                        ; implicit-def: $vgpr41
                                        ; implicit-def: $vgpr66
                                        ; implicit-def: $vgpr57
                                        ; implicit-def: $vgpr54
                                        ; implicit-def: $vgpr43
                                        ; implicit-def: $vgpr67
                                        ; implicit-def: $vgpr59
                                        ; implicit-def: $vgpr44
                                        ; implicit-def: $vgpr30
                                        ; implicit-def: $vgpr40
                                        ; implicit-def: $vgpr33
	s_xor_b32 exec_lo, exec_lo, s1
	s_cbranch_execz .LBB0_13
; %bb.12:
	s_add_u32 s4, s16, s4
	s_addc_u32 s5, s17, s5
	v_lshlrev_b64 v[5:6], 2, v[5:6]
	s_load_dwordx2 s[4:5], s[4:5], 0x0
	s_waitcnt lgkmcnt(0)
	v_mul_lo_u32 v9, s5, v3
	v_mul_lo_u32 v10, s4, v4
	v_mad_u64_u32 v[7:8], null, s4, v3, 0
	v_add3_u32 v8, v8, v10, v9
	v_mul_u32_u24_e32 v9, 0x87, v68
	v_lshlrev_b64 v[7:8], 2, v[7:8]
	v_sub_nc_u32_e32 v31, v0, v9
	v_add_co_u32 v0, s0, s8, v7
	v_add_co_ci_u32_e64 v7, s0, s9, v8, s0
	v_lshlrev_b32_e32 v8, 2, v31
	v_add_co_u32 v0, s0, v0, v5
	v_add_co_ci_u32_e64 v6, s0, v7, v6, s0
	v_add_co_u32 v5, s0, v0, v8
	v_add_co_ci_u32_e64 v6, s0, 0, v6, s0
	;; [unrolled: 2-line block ×9, first 2 shown]
	s_clause 0x1d
	global_load_dword v33, v[5:6], off
	global_load_dword v27, v[5:6], off offset:540
	global_load_dword v59, v[7:8], off offset:1192
	;; [unrolled: 1-line block ×29, first 2 shown]
	s_waitcnt vmcnt(29)
	v_lshrrev_b32_e32 v40, 16, v33
	s_waitcnt vmcnt(28)
	v_lshrrev_b32_e32 v29, 16, v27
	;; [unrolled: 2-line block ×30, first 2 shown]
.LBB0_13:
	s_or_b32 exec_lo, exec_lo, s1
	v_add_f16_e32 v5, v59, v33
	v_add_f16_e32 v0, v56, v57
	v_sub_f16_e32 v6, v67, v60
	v_add_f16_e32 v71, v58, v59
	v_sub_f16_e32 v68, v66, v65
	v_add_f16_e32 v5, v57, v5
	v_fma_f16 v69, -0.5, v0, v33
	v_sub_f16_e32 v0, v59, v57
	v_sub_f16_e32 v70, v58, v56
	v_fmac_f16_e32 v33, -0.5, v71
	v_add_f16_e32 v5, v56, v5
	v_fmamk_f16 v72, v6, 0xbb9c, v69
	v_fmac_f16_e32 v69, 0x3b9c, v6
	v_sub_f16_e32 v73, v57, v59
	v_add_f16_e32 v0, v70, v0
	v_add_f16_e32 v74, v58, v5
	;; [unrolled: 1-line block ×3, first 2 shown]
	v_fmac_f16_e32 v72, 0xb8b4, v68
	v_sub_f16_e32 v70, v56, v58
	v_fmamk_f16 v71, v68, 0x3b9c, v33
	v_fmac_f16_e32 v69, 0x38b4, v68
	v_add_f16_e32 v75, v65, v66
	v_fmac_f16_e32 v33, 0xbb9c, v68
	v_add_f16_e32 v5, v66, v5
	v_fmac_f16_e32 v72, 0x34f2, v0
	v_fmac_f16_e32 v71, 0xb8b4, v6
	v_add_f16_e32 v70, v70, v73
	v_fma_f16 v68, -0.5, v75, v40
	v_sub_f16_e32 v58, v59, v58
	v_fmac_f16_e32 v69, 0x34f2, v0
	v_fmac_f16_e32 v33, 0x38b4, v6
	v_add_f16_e32 v0, v65, v5
	v_add_f16_e32 v5, v60, v67
	v_sub_f16_e32 v6, v57, v56
	v_sub_f16_e32 v56, v67, v66
	;; [unrolled: 1-line block ×3, first 2 shown]
	v_fmac_f16_e32 v71, 0x34f2, v70
	v_fmamk_f16 v73, v58, 0x3b9c, v68
	v_fmac_f16_e32 v33, 0x34f2, v70
	v_fmac_f16_e32 v40, -0.5, v5
	v_add_f16_e32 v70, v60, v0
	v_add_f16_e32 v0, v57, v56
	v_fmac_f16_e32 v68, 0xbb9c, v58
	v_sub_f16_e32 v5, v66, v67
	v_sub_f16_e32 v56, v65, v60
	v_add_f16_e32 v57, v43, v30
	v_fmac_f16_e32 v73, 0x38b4, v6
	v_fmamk_f16 v75, v6, 0xbb9c, v40
	v_fmac_f16_e32 v68, 0xb8b4, v6
	v_add_f16_e32 v5, v56, v5
	v_fmac_f16_e32 v40, 0x3b9c, v6
	v_add_f16_e32 v6, v41, v57
	v_add_f16_e32 v56, v36, v41
	v_fmac_f16_e32 v73, 0x34f2, v0
	v_fmac_f16_e32 v75, 0x38b4, v58
	;; [unrolled: 1-line block ×4, first 2 shown]
	v_add_f16_e32 v0, v36, v6
	v_fma_f16 v6, -0.5, v56, v30
	v_add_f16_e32 v56, v35, v43
	v_sub_f16_e32 v57, v54, v45
	v_fmac_f16_e32 v75, 0x34f2, v5
	v_fmac_f16_e32 v40, 0x34f2, v5
	v_add_f16_e32 v58, v35, v0
	v_sub_f16_e32 v0, v52, v50
	v_fmac_f16_e32 v30, -0.5, v56
	v_fmamk_f16 v56, v57, 0xbb9c, v6
	v_sub_f16_e32 v5, v43, v41
	v_sub_f16_e32 v59, v35, v36
	v_fmac_f16_e32 v6, 0x3b9c, v57
	v_fmamk_f16 v60, v0, 0x3b9c, v30
	v_fmac_f16_e32 v56, 0xb8b4, v0
	v_fmac_f16_e32 v30, 0xbb9c, v0
	v_add_f16_e32 v5, v59, v5
	v_fmac_f16_e32 v6, 0x38b4, v0
	v_add_f16_e32 v0, v50, v52
	v_sub_f16_e32 v65, v41, v43
	v_sub_f16_e32 v66, v36, v35
	v_fmac_f16_e32 v60, 0xb8b4, v57
	v_fmac_f16_e32 v56, 0x34f2, v5
	;; [unrolled: 1-line block ×4, first 2 shown]
	v_add_f16_e32 v5, v45, v54
	v_fma_f16 v57, -0.5, v0, v44
	v_sub_f16_e32 v0, v43, v35
	v_add_f16_e32 v59, v66, v65
	v_add_f16_e32 v35, v54, v44
	v_sub_f16_e32 v36, v41, v36
	v_fmac_f16_e32 v44, -0.5, v5
	v_fmamk_f16 v41, v0, 0x3b9c, v57
	v_sub_f16_e32 v5, v54, v52
	v_sub_f16_e32 v43, v45, v50
	v_fmac_f16_e32 v60, 0x34f2, v59
	v_fmac_f16_e32 v30, 0x34f2, v59
	v_fmamk_f16 v59, v36, 0xbb9c, v44
	v_sub_f16_e32 v54, v52, v54
	v_sub_f16_e32 v65, v50, v45
	v_fmac_f16_e32 v44, 0x3b9c, v36
	v_fmac_f16_e32 v41, 0x38b4, v36
	v_add_f16_e32 v5, v43, v5
	v_fmac_f16_e32 v57, 0xbb9c, v0
	v_add_f16_e32 v43, v65, v54
	v_fmac_f16_e32 v44, 0xb8b4, v0
	v_fmac_f16_e32 v59, 0x38b4, v0
	;; [unrolled: 1-line block ×4, first 2 shown]
	v_add_f16_e32 v0, v52, v35
	v_fmac_f16_e32 v44, 0x34f2, v43
	v_fmac_f16_e32 v59, 0x34f2, v43
	v_mul_f16_e32 v35, 0xb8b4, v41
	v_fmac_f16_e32 v57, 0x34f2, v5
	v_add_f16_e32 v0, v50, v0
	v_mul_f16_e32 v65, 0xbb9c, v44
	v_mul_f16_e32 v36, 0xbb9c, v59
	v_fmac_f16_e32 v35, 0x3a79, v56
	v_mul_f16_e32 v67, 0xb8b4, v57
	v_mul_f16_e32 v76, 0x38b4, v56
	v_fmac_f16_e32 v65, 0xb4f2, v30
	v_mul_f16_e32 v77, 0x3b9c, v60
	v_add_f16_e32 v5, v72, v35
	v_fmac_f16_e32 v67, 0xba79, v6
	v_mul_f16_e32 v79, 0xba79, v57
	v_sub_f16_e32 v57, v72, v35
	v_add_f16_e32 v35, v51, v49
	v_add_f16_e32 v66, v45, v0
	v_fmac_f16_e32 v36, 0x34f2, v60
	v_add_f16_e32 v0, v58, v74
	v_add_f16_e32 v52, v33, v65
	;; [unrolled: 1-line block ×3, first 2 shown]
	v_fmac_f16_e32 v76, 0x3a79, v41
	v_fmac_f16_e32 v77, 0x34f2, v59
	v_sub_f16_e32 v56, v74, v58
	v_sub_f16_e32 v58, v33, v65
	;; [unrolled: 1-line block ×3, first 2 shown]
	v_add_f16_e32 v41, v53, v27
	v_fma_f16 v65, -0.5, v35, v27
	v_sub_f16_e32 v67, v64, v61
	v_add_f16_e32 v72, v55, v53
	v_add_f16_e32 v50, v71, v36
	v_fmac_f16_e32 v79, 0x38b4, v6
	v_add_f16_e32 v6, v66, v70
	v_sub_f16_e32 v60, v71, v36
	v_sub_f16_e32 v33, v70, v66
	v_add_f16_e32 v41, v49, v41
	v_fmamk_f16 v66, v67, 0xbb9c, v65
	v_sub_f16_e32 v69, v63, v62
	v_sub_f16_e32 v70, v53, v49
	v_sub_f16_e32 v71, v55, v51
	v_fmac_f16_e32 v27, -0.5, v72
	v_fmac_f16_e32 v65, 0x3b9c, v67
	v_add_f16_e32 v74, v64, v29
	v_mul_f16_e32 v78, 0xb4f2, v44
	v_add_f16_e32 v43, v73, v76
	v_sub_f16_e32 v35, v73, v76
	v_add_f16_e32 v73, v51, v41
	v_fmac_f16_e32 v66, 0xb8b4, v69
	v_add_f16_e32 v70, v71, v70
	v_fmamk_f16 v71, v69, 0x3b9c, v27
	v_fmac_f16_e32 v65, 0x38b4, v69
	v_fmac_f16_e32 v27, 0xbb9c, v69
	v_add_f16_e32 v69, v63, v74
	v_fmac_f16_e32 v78, 0x3b9c, v30
	v_add_f16_e32 v44, v75, v77
	v_add_f16_e32 v30, v68, v79
	v_sub_f16_e32 v36, v75, v77
	v_sub_f16_e32 v41, v68, v79
	v_add_f16_e32 v68, v55, v73
	v_sub_f16_e32 v72, v49, v53
	v_sub_f16_e32 v73, v51, v55
	v_add_f16_e32 v75, v62, v63
	v_sub_f16_e32 v53, v53, v55
	v_add_f16_e32 v55, v62, v69
	v_add_f16_e32 v69, v61, v64
	;; [unrolled: 1-line block ×3, first 2 shown]
	v_fma_f16 v73, -0.5, v75, v29
	v_sub_f16_e32 v49, v49, v51
	v_fmac_f16_e32 v66, 0x34f2, v70
	v_fmac_f16_e32 v29, -0.5, v69
	v_fmac_f16_e32 v71, 0xb8b4, v67
	v_fmac_f16_e32 v65, 0x34f2, v70
	;; [unrolled: 1-line block ×3, first 2 shown]
	v_fmamk_f16 v67, v53, 0x3b9c, v73
	v_sub_f16_e32 v51, v64, v63
	v_sub_f16_e32 v70, v61, v62
	v_add_f16_e32 v55, v61, v55
	v_fmac_f16_e32 v73, 0xbb9c, v53
	v_fmamk_f16 v69, v49, 0xbb9c, v29
	v_sub_f16_e32 v63, v63, v64
	v_sub_f16_e32 v61, v62, v61
	v_add_f16_e32 v62, v32, v28
	v_fmac_f16_e32 v29, 0x3b9c, v49
	v_fmac_f16_e32 v67, 0x38b4, v49
	v_add_f16_e32 v51, v70, v51
	v_fmac_f16_e32 v73, 0xb8b4, v49
	v_fmac_f16_e32 v69, 0x38b4, v53
	v_add_f16_e32 v61, v61, v63
	v_add_f16_e32 v49, v34, v62
	;; [unrolled: 1-line block ×3, first 2 shown]
	v_fmac_f16_e32 v29, 0xb8b4, v53
	v_add_f16_e32 v53, v38, v32
	v_fmac_f16_e32 v67, 0x34f2, v51
	v_fmac_f16_e32 v73, 0x34f2, v51
	;; [unrolled: 1-line block ×3, first 2 shown]
	v_fma_f16 v51, -0.5, v62, v28
	v_sub_f16_e32 v62, v48, v42
	v_fmac_f16_e32 v29, 0x34f2, v61
	v_sub_f16_e32 v61, v47, v46
	v_fmac_f16_e32 v28, -0.5, v53
	v_fmac_f16_e32 v71, 0x34f2, v72
	v_fmamk_f16 v53, v62, 0xbb9c, v51
	v_fmac_f16_e32 v51, 0x3b9c, v62
	v_fmac_f16_e32 v27, 0x34f2, v72
	v_fmamk_f16 v70, v61, 0x3b9c, v28
	v_fmac_f16_e32 v28, 0xbb9c, v61
	v_add_f16_e32 v49, v37, v49
	v_sub_f16_e32 v63, v32, v34
	v_sub_f16_e32 v64, v38, v37
	v_sub_f16_e32 v72, v34, v32
	v_sub_f16_e32 v74, v37, v38
	v_fmac_f16_e32 v53, 0xb8b4, v61
	v_fmac_f16_e32 v51, 0x38b4, v61
	;; [unrolled: 1-line block ×3, first 2 shown]
	v_add_f16_e32 v61, v46, v47
	v_fmac_f16_e32 v28, 0x38b4, v62
	v_add_f16_e32 v62, v42, v48
	v_add_f16_e32 v49, v38, v49
	;; [unrolled: 1-line block ×4, first 2 shown]
	v_fma_f16 v61, -0.5, v61, v39
	v_sub_f16_e32 v32, v32, v38
	v_add_f16_e32 v38, v48, v39
	v_sub_f16_e32 v34, v34, v37
	v_fmac_f16_e32 v39, -0.5, v62
	v_fmac_f16_e32 v53, 0x34f2, v63
	v_fmac_f16_e32 v51, 0x34f2, v63
	;; [unrolled: 1-line block ×4, first 2 shown]
	v_fmamk_f16 v37, v32, 0x3b9c, v61
	v_sub_f16_e32 v62, v48, v47
	v_sub_f16_e32 v63, v42, v46
	v_fmamk_f16 v64, v34, 0xbb9c, v39
	v_sub_f16_e32 v48, v47, v48
	v_sub_f16_e32 v72, v46, v42
	v_fmac_f16_e32 v39, 0x3b9c, v34
	v_fmac_f16_e32 v37, 0x38b4, v34
	v_add_f16_e32 v62, v63, v62
	v_fmac_f16_e32 v64, 0x38b4, v32
	v_add_f16_e32 v48, v72, v48
	v_fmac_f16_e32 v39, 0xb8b4, v32
	v_fmac_f16_e32 v61, 0xbb9c, v32
	v_add_f16_e32 v32, v47, v38
	v_fmac_f16_e32 v37, 0x34f2, v62
	v_fmac_f16_e32 v64, 0x34f2, v48
	;; [unrolled: 1-line block ×4, first 2 shown]
	v_add_f16_e32 v32, v46, v32
	v_mul_f16_e32 v34, 0xb8b4, v37
	v_mul_f16_e32 v38, 0xbb9c, v64
	;; [unrolled: 1-line block ×3, first 2 shown]
	v_fmac_f16_e32 v61, 0x34f2, v62
	v_add_f16_e32 v32, v42, v32
	v_fmac_f16_e32 v34, 0x3a79, v53
	v_fmac_f16_e32 v38, 0x34f2, v70
	;; [unrolled: 1-line block ×3, first 2 shown]
	v_mul_f16_e32 v42, 0xb8b4, v61
	v_mul_f16_e32 v70, 0x3b9c, v70
	v_add_f16_e32 v48, v66, v34
	v_add_f16_e32 v62, v71, v38
	;; [unrolled: 1-line block ×3, first 2 shown]
	v_fmac_f16_e32 v42, 0xba79, v51
	v_mul_f16_e32 v53, 0x38b4, v53
	v_mul_f16_e32 v39, 0xb4f2, v39
	;; [unrolled: 1-line block ×3, first 2 shown]
	v_fmac_f16_e32 v70, 0x34f2, v64
	v_sub_f16_e32 v34, v66, v34
	v_add_f16_e32 v66, v20, v19
	v_sub_f16_e32 v38, v71, v38
	v_sub_f16_e32 v27, v27, v46
	v_add_f16_e32 v46, v21, v7
	v_add_f16_e32 v71, v25, v21
	;; [unrolled: 1-line block ×4, first 2 shown]
	v_fmac_f16_e32 v53, 0x3a79, v37
	v_fmac_f16_e32 v39, 0x3b9c, v28
	;; [unrolled: 1-line block ×3, first 2 shown]
	v_add_f16_e32 v28, v32, v55
	v_add_f16_e32 v51, v69, v70
	v_sub_f16_e32 v49, v68, v49
	v_sub_f16_e32 v42, v65, v42
	v_fma_f16 v65, -0.5, v66, v7
	v_sub_f16_e32 v66, v26, v22
	v_sub_f16_e32 v32, v55, v32
	v_sub_f16_e32 v55, v69, v70
	v_add_f16_e32 v46, v19, v46
	v_sub_f16_e32 v68, v24, v23
	v_sub_f16_e32 v69, v21, v19
	;; [unrolled: 1-line block ×3, first 2 shown]
	v_fmac_f16_e32 v7, -0.5, v71
	v_add_f16_e32 v37, v67, v53
	v_add_f16_e32 v64, v29, v39
	v_add_f16_e32 v74, v73, v61
	v_sub_f16_e32 v53, v67, v53
	v_fmamk_f16 v67, v66, 0xbb9c, v65
	v_sub_f16_e32 v29, v29, v39
	v_add_f16_e32 v39, v20, v46
	v_add_f16_e32 v46, v70, v69
	v_sub_f16_e32 v61, v73, v61
	v_fmac_f16_e32 v65, 0x3b9c, v66
	v_fmamk_f16 v69, v68, 0x3b9c, v7
	v_add_f16_e32 v73, v26, v9
	v_fmac_f16_e32 v7, 0xbb9c, v68
	v_fmac_f16_e32 v67, 0xb8b4, v68
	v_sub_f16_e32 v70, v19, v21
	v_sub_f16_e32 v71, v20, v25
	v_fmac_f16_e32 v65, 0x38b4, v68
	v_add_f16_e32 v75, v23, v24
	v_fmac_f16_e32 v69, 0xb8b4, v66
	v_add_f16_e32 v68, v24, v73
	;; [unrolled: 2-line block ×3, first 2 shown]
	v_add_f16_e32 v39, v25, v39
	v_add_f16_e32 v70, v71, v70
	v_fma_f16 v71, -0.5, v75, v9
	v_sub_f16_e32 v21, v21, v25
	v_add_f16_e32 v25, v23, v68
	v_sub_f16_e32 v19, v19, v20
	v_fmac_f16_e32 v9, -0.5, v66
	v_fmac_f16_e32 v67, 0x34f2, v46
	v_fmac_f16_e32 v65, 0x34f2, v46
	v_fmamk_f16 v46, v21, 0x3b9c, v71
	v_sub_f16_e32 v20, v26, v24
	v_sub_f16_e32 v68, v22, v23
	v_add_f16_e32 v25, v22, v25
	v_fmac_f16_e32 v71, 0xbb9c, v21
	v_fmamk_f16 v66, v19, 0xbb9c, v9
	v_sub_f16_e32 v24, v24, v26
	v_sub_f16_e32 v22, v23, v22
	v_add_f16_e32 v23, v12, v8
	v_fmac_f16_e32 v9, 0x3b9c, v19
	v_fmac_f16_e32 v46, 0x38b4, v19
	v_add_f16_e32 v20, v68, v20
	v_fmac_f16_e32 v71, 0xb8b4, v19
	v_fmac_f16_e32 v66, 0x38b4, v21
	v_add_f16_e32 v22, v22, v24
	v_add_f16_e32 v19, v14, v23
	v_add_f16_e32 v23, v13, v14
	v_fmac_f16_e32 v9, 0xb8b4, v21
	v_add_f16_e32 v21, v15, v12
	v_fmac_f16_e32 v46, 0x34f2, v20
	v_fmac_f16_e32 v71, 0x34f2, v20
	;; [unrolled: 1-line block ×3, first 2 shown]
	v_fma_f16 v20, -0.5, v23, v8
	v_sub_f16_e32 v23, v18, v11
	v_fmac_f16_e32 v9, 0x34f2, v22
	v_sub_f16_e32 v22, v17, v16
	v_fmac_f16_e32 v8, -0.5, v21
	v_fmac_f16_e32 v69, 0x34f2, v70
	v_fmamk_f16 v21, v23, 0xbb9c, v20
	v_fmac_f16_e32 v20, 0x3b9c, v23
	v_fmac_f16_e32 v7, 0x34f2, v70
	v_fmamk_f16 v68, v22, 0x3b9c, v8
	v_fmac_f16_e32 v8, 0xbb9c, v22
	v_add_f16_e32 v19, v13, v19
	v_sub_f16_e32 v24, v12, v14
	v_sub_f16_e32 v26, v15, v13
	;; [unrolled: 1-line block ×4, first 2 shown]
	v_fmac_f16_e32 v21, 0xb8b4, v22
	v_fmac_f16_e32 v20, 0x38b4, v22
	;; [unrolled: 1-line block ×3, first 2 shown]
	v_add_f16_e32 v22, v16, v17
	v_fmac_f16_e32 v8, 0x38b4, v23
	v_add_f16_e32 v23, v11, v18
	v_add_f16_e32 v19, v15, v19
	;; [unrolled: 1-line block ×4, first 2 shown]
	v_fma_f16 v22, -0.5, v22, v10
	v_sub_f16_e32 v12, v12, v15
	v_add_f16_e32 v15, v18, v10
	v_sub_f16_e32 v13, v14, v13
	v_fmac_f16_e32 v10, -0.5, v23
	v_fmac_f16_e32 v68, 0x34f2, v26
	v_fmac_f16_e32 v8, 0x34f2, v26
	v_sub_f16_e32 v23, v18, v17
	v_sub_f16_e32 v18, v17, v18
	v_fmamk_f16 v26, v13, 0xbb9c, v10
	v_sub_f16_e32 v70, v16, v11
	v_fmac_f16_e32 v10, 0x3b9c, v13
	v_fmac_f16_e32 v21, 0x34f2, v24
	;; [unrolled: 1-line block ×3, first 2 shown]
	v_fmamk_f16 v14, v12, 0x3b9c, v22
	v_sub_f16_e32 v24, v11, v16
	v_add_f16_e32 v18, v70, v18
	v_fmac_f16_e32 v10, 0xb8b4, v12
	v_fmac_f16_e32 v26, 0x38b4, v12
	v_fmac_f16_e32 v14, 0x38b4, v13
	v_add_f16_e32 v23, v24, v23
	v_fmac_f16_e32 v22, 0xbb9c, v12
	v_add_f16_e32 v12, v17, v15
	v_fmac_f16_e32 v10, 0x34f2, v18
	v_fmac_f16_e32 v26, 0x34f2, v18
	;; [unrolled: 1-line block ×4, first 2 shown]
	v_add_f16_e32 v12, v16, v12
	v_mul_f16_e32 v16, 0xbb9c, v10
	v_mul_f16_e32 v10, 0xb4f2, v10
	;; [unrolled: 1-line block ×3, first 2 shown]
	v_fmac_f16_e32 v22, 0x34f2, v23
	v_add_f16_e32 v11, v11, v12
	v_fmac_f16_e32 v16, 0xb4f2, v8
	v_fmac_f16_e32 v10, 0x3b9c, v8
	v_fmac_f16_e32 v13, 0x3a79, v21
	v_mul_f16_e32 v21, 0x38b4, v21
	v_mul_f16_e32 v12, 0xb8b4, v22
	v_add_f16_e32 v24, v7, v16
	v_sub_f16_e32 v7, v7, v16
	v_mul_u32_u24_e32 v16, 10, v31
	v_mul_f16_e32 v22, 0xba79, v22
	v_fmac_f16_e32 v21, 0x3a79, v14
	v_mul_f16_e32 v15, 0xbb9c, v26
	v_fmac_f16_e32 v12, 0xba79, v20
	v_lshl_add_u32 v16, v16, 1, 0
	v_fmac_f16_e32 v22, 0x38b4, v20
	v_add_f16_e32 v20, v46, v21
	v_add_f16_e32 v73, v9, v10
	v_sub_f16_e32 v21, v46, v21
	v_sub_f16_e32 v46, v9, v10
	v_pack_b32_f16 v9, v50, v52
	v_pack_b32_f16 v0, v0, v5
	v_fmac_f16_e32 v15, 0x34f2, v68
	v_pack_b32_f16 v5, v57, v60
	v_pack_b32_f16 v10, v54, v56
	v_add_f16_e32 v17, v19, v39
	v_add_f16_e32 v14, v11, v25
	v_sub_f16_e32 v8, v39, v19
	v_sub_f16_e32 v19, v25, v11
	v_pack_b32_f16 v11, v58, v59
	v_add_nc_u32_e32 v50, 0xa8c, v16
	v_pack_b32_f16 v25, v62, v63
	v_pack_b32_f16 v47, v47, v48
	s_load_dwordx2 s[2:3], s[2:3], 0x0
	v_add_f16_e32 v45, v40, v78
	v_mul_f16_e32 v68, 0x3b9c, v68
	v_add_f16_e32 v70, v65, v12
	v_sub_f16_e32 v12, v65, v12
	ds_write2_b32 v16, v0, v9 offset1:1
	ds_write2_b32 v16, v10, v5 offset0:2 offset1:3
	ds_write_b32 v16, v11 offset:16
	ds_write2_b32 v50, v47, v25 offset1:1
	v_add_nc_u32_e32 v47, 0xa94, v16
	v_pack_b32_f16 v0, v34, v38
	v_pack_b32_f16 v5, v72, v49
	v_add_f16_e32 v18, v67, v13
	v_add_f16_e32 v23, v69, v15
	v_sub_f16_e32 v13, v67, v13
	v_sub_f16_e32 v15, v69, v15
	v_fmac_f16_e32 v68, 0x34f2, v26
	v_pack_b32_f16 v9, v27, v42
	ds_write2_b32 v47, v5, v0 offset1:1
	v_pack_b32_f16 v5, v7, v12
	v_mad_i32_i24 v0, 0xffffffee, v31, v16
	v_pack_b32_f16 v12, v44, v45
	v_pack_b32_f16 v6, v6, v43
	v_add_nc_u32_e32 v27, 0x1518, v16
	v_pack_b32_f16 v10, v23, v24
	v_pack_b32_f16 v11, v17, v18
	v_add_nc_u32_e32 v17, 0x1520, v16
	v_pack_b32_f16 v13, v13, v15
	v_pack_b32_f16 v8, v70, v8
	v_sub_f16_e32 v40, v40, v78
	v_add_f16_e32 v26, v66, v68
	v_add_f16_e32 v75, v71, v22
	v_sub_f16_e32 v39, v66, v68
	v_sub_f16_e32 v22, v71, v22
	ds_write_b32 v16, v9 offset:2716
	ds_write2_b32 v27, v11, v10 offset1:1
	ds_write2_b32 v17, v8, v13 offset1:1
	ds_write_b32 v16, v5 offset:5416
	s_waitcnt lgkmcnt(0)
	s_barrier
	buffer_gl0_inv
	ds_read_u16 v56, v0 offset:3780
	ds_read_u16 v57, v0 offset:4050
	ds_read_u16 v11, v0
	ds_read_u16 v10, v0 offset:270
	ds_read_u16 v9, v0 offset:540
	ds_read_u16 v7, v0 offset:810
	ds_read_u16 v5, v0 offset:1080
	ds_read_u16 v58, v0 offset:2160
	ds_read_u16 v59, v0 offset:2430
	ds_read_u16 v60, v0 offset:2700
	ds_read_u16 v62, v0 offset:4320
	ds_read_u16 v63, v0 offset:1890
	ds_read_u16 v65, v0 offset:1620
	ds_read_u16 v8, v0 offset:1350
	ds_read_u16 v66, v0 offset:3510
	ds_read_u16 v67, v0 offset:3240
	ds_read_u16 v69, v0 offset:2970
	ds_read_u16 v68, v0 offset:5400
	ds_read_u16 v71, v0 offset:5670
	ds_read_u16 v72, v0 offset:5940
	ds_read_u16 v25, v0 offset:6210
	ds_read_u16 v70, v0 offset:5130
	ds_read_u16 v76, v0 offset:4860
	ds_read_u16 v81, v0 offset:4590
	ds_read_u16 v77, v0 offset:6480
	ds_read_u16 v78, v0 offset:6750
	ds_read_u16 v82, v0 offset:7020
	ds_read_u16 v83, v0 offset:7290
	ds_read_u16 v89, v0 offset:7560
	ds_read_u16 v90, v0 offset:7830
	s_waitcnt lgkmcnt(0)
	s_barrier
	buffer_gl0_inv
	ds_write2_b32 v16, v6, v12 offset1:1
	v_and_b32_e32 v6, 0xff, v31
	v_pack_b32_f16 v12, v35, v36
	v_pack_b32_f16 v13, v30, v33
	;; [unrolled: 1-line block ×4, first 2 shown]
	v_mul_lo_u16 v23, 0xcd, v6
	v_pack_b32_f16 v24, v28, v37
	ds_write2_b32 v16, v13, v12 offset0:2 offset1:3
	v_pack_b32_f16 v28, v53, v55
	v_pack_b32_f16 v30, v74, v32
	v_lshrrev_b16 v12, 11, v23
	ds_write_b32 v16, v15 offset:16
	ds_write2_b32 v50, v24, v18 offset1:1
	ds_write2_b32 v47, v30, v28 offset1:1
	v_pack_b32_f16 v15, v29, v61
	v_add_nc_u32_e32 v37, 0x87, v31
	v_mul_lo_u16 v13, v12, 10
	v_mov_b32_e32 v23, 0xcccd
	v_pack_b32_f16 v18, v26, v73
	v_pack_b32_f16 v14, v14, v20
	v_mov_b32_e32 v30, 4
	v_sub_nc_u16 v13, v31, v13
	ds_write_b32 v16, v15 offset:2716
	v_mul_u32_u24_sdwa v15, v37, v23 dst_sel:DWORD dst_unused:UNUSED_PAD src0_sel:WORD_0 src1_sel:DWORD
	v_pack_b32_f16 v20, v21, v39
	v_pack_b32_f16 v19, v75, v19
	;; [unrolled: 1-line block ×3, first 2 shown]
	ds_write2_b32 v27, v14, v18 offset1:1
	ds_write2_b32 v17, v19, v20 offset1:1
	v_lshlrev_b32_sdwa v14, v30, v13 dst_sel:DWORD dst_unused:UNUSED_PAD src0_sel:DWORD src1_sel:BYTE_0
	v_lshrrev_b32_e32 v15, 19, v15
	ds_write_b32 v16, v21 offset:5416
	s_waitcnt lgkmcnt(0)
	s_barrier
	buffer_gl0_inv
	global_load_dwordx4 v[26:29], v14, s[12:13]
	v_mul_lo_u16 v14, v15, 10
	v_add_nc_u32_e32 v36, 0x10e, v31
	v_add_nc_u32_e32 v32, 0x195, v31
	;; [unrolled: 1-line block ×4, first 2 shown]
	v_sub_nc_u16 v16, v37, v14
	v_mul_u32_u24_sdwa v14, v36, v23 dst_sel:DWORD dst_unused:UNUSED_PAD src0_sel:WORD_0 src1_sel:DWORD
	v_mul_lo_u16 v6, v6, 41
	v_lshlrev_b32_sdwa v18, v30, v16 dst_sel:DWORD dst_unused:UNUSED_PAD src0_sel:DWORD src1_sel:WORD_0
	v_lshrrev_b32_e32 v17, 19, v14
	global_load_dwordx4 v[38:41], v18, s[12:13]
	v_mul_lo_u16 v14, v17, 10
	v_sub_nc_u16 v18, v36, v14
	v_mul_u32_u24_sdwa v14, v32, v23 dst_sel:DWORD dst_unused:UNUSED_PAD src0_sel:WORD_0 src1_sel:DWORD
	v_lshlrev_b32_sdwa v20, v30, v18 dst_sel:DWORD dst_unused:UNUSED_PAD src0_sel:DWORD src1_sel:WORD_0
	v_lshrrev_b32_e32 v19, 19, v14
	global_load_dwordx4 v[42:45], v20, s[12:13]
	v_mul_lo_u16 v14, v19, 10
	v_sub_nc_u16 v20, v32, v14
	v_mul_u32_u24_sdwa v14, v33, v23 dst_sel:DWORD dst_unused:UNUSED_PAD src0_sel:WORD_0 src1_sel:DWORD
	;; [unrolled: 6-line block ×3, first 2 shown]
	v_lshlrev_b32_sdwa v23, v30, v24 dst_sel:DWORD dst_unused:UNUSED_PAD src0_sel:DWORD src1_sel:WORD_0
	global_load_dwordx4 v[52:55], v23, s[12:13]
	v_lshrrev_b32_e32 v21, 19, v14
	v_mul_lo_u16 v14, v21, 10
	v_sub_nc_u16 v23, v34, v14
	v_lshlrev_b32_sdwa v14, v30, v23 dst_sel:DWORD dst_unused:UNUSED_PAD src0_sel:DWORD src1_sel:WORD_0
	global_load_dwordx4 v[85:88], v14, s[12:13]
	ds_read_u16 v30, v0 offset:1620
	ds_read_u16 v35, v0 offset:3780
	;; [unrolled: 1-line block ×21, first 2 shown]
	s_waitcnt vmcnt(5) lgkmcnt(20)
	v_mul_f16_sdwa v95, v30, v26 dst_sel:DWORD dst_unused:UNUSED_PAD src0_sel:DWORD src1_sel:WORD_1
	v_mul_f16_sdwa v100, v65, v26 dst_sel:DWORD dst_unused:UNUSED_PAD src0_sel:DWORD src1_sel:WORD_1
	s_waitcnt lgkmcnt(17)
	v_mul_f16_sdwa v101, v51, v27 dst_sel:DWORD dst_unused:UNUSED_PAD src0_sel:DWORD src1_sel:WORD_1
	v_mul_f16_sdwa v102, v67, v27 dst_sel:DWORD dst_unused:UNUSED_PAD src0_sel:DWORD src1_sel:WORD_1
	s_waitcnt lgkmcnt(14)
	v_mul_f16_sdwa v103, v73, v28 dst_sel:DWORD dst_unused:UNUSED_PAD src0_sel:DWORD src1_sel:WORD_1
	v_fmac_f16_e32 v95, v65, v26
	v_fma_f16 v100, v30, v26, -v100
	v_fmac_f16_e32 v101, v67, v27
	v_fma_f16 v67, v51, v27, -v102
	v_mul_f16_sdwa v26, v76, v28 dst_sel:DWORD dst_unused:UNUSED_PAD src0_sel:DWORD src1_sel:WORD_1
	v_mul_f16_sdwa v27, v77, v29 dst_sel:DWORD dst_unused:UNUSED_PAD src0_sel:DWORD src1_sel:WORD_1
	s_waitcnt lgkmcnt(11)
	v_mul_f16_sdwa v102, v74, v29 dst_sel:DWORD dst_unused:UNUSED_PAD src0_sel:DWORD src1_sel:WORD_1
	ds_read_u16 v30, v0 offset:2160
	v_fmac_f16_e32 v103, v76, v28
	v_fma_f16 v104, v73, v28, -v26
	v_fma_f16 v106, v74, v29, -v27
	s_waitcnt vmcnt(4)
	v_mul_f16_sdwa v26, v63, v38 dst_sel:DWORD dst_unused:UNUSED_PAD src0_sel:DWORD src1_sel:WORD_1
	v_mul_f16_sdwa v27, v66, v39 dst_sel:DWORD dst_unused:UNUSED_PAD src0_sel:DWORD src1_sel:WORD_1
	v_fmac_f16_e32 v102, v77, v29
	ds_read_u16 v28, v0 offset:2430
	ds_read_u16 v29, v0 offset:2700
	v_mul_f16_sdwa v105, v64, v38 dst_sel:DWORD dst_unused:UNUSED_PAD src0_sel:DWORD src1_sel:WORD_1
	v_fma_f16 v109, v64, v38, -v26
	v_fma_f16 v110, v61, v39, -v27
	v_mul_f16_sdwa v26, v70, v40 dst_sel:DWORD dst_unused:UNUSED_PAD src0_sel:DWORD src1_sel:WORD_1
	v_mul_f16_sdwa v27, v78, v41 dst_sel:DWORD dst_unused:UNUSED_PAD src0_sel:DWORD src1_sel:WORD_1
	s_waitcnt lgkmcnt(7)
	v_mul_f16_sdwa v111, v84, v41 dst_sel:DWORD dst_unused:UNUSED_PAD src0_sel:DWORD src1_sel:WORD_1
	v_fmac_f16_e32 v105, v63, v38
	v_mul_f16_sdwa v107, v61, v39 dst_sel:DWORD dst_unused:UNUSED_PAD src0_sel:DWORD src1_sel:WORD_1
	v_fma_f16 v112, v79, v40, -v26
	v_fma_f16 v113, v84, v41, -v27
	v_mul_f16_sdwa v108, v79, v40 dst_sel:DWORD dst_unused:UNUSED_PAD src0_sel:DWORD src1_sel:WORD_1
	v_fmac_f16_e32 v111, v78, v41
	s_waitcnt vmcnt(3)
	v_mul_f16_sdwa v26, v56, v43 dst_sel:DWORD dst_unused:UNUSED_PAD src0_sel:DWORD src1_sel:WORD_1
	v_mul_f16_sdwa v27, v68, v44 dst_sel:DWORD dst_unused:UNUSED_PAD src0_sel:DWORD src1_sel:WORD_1
	;; [unrolled: 1-line block ×4, first 2 shown]
	s_waitcnt lgkmcnt(6)
	v_mul_f16_sdwa v115, v96, v45 dst_sel:DWORD dst_unused:UNUSED_PAD src0_sel:DWORD src1_sel:WORD_1
	v_fma_f16 v84, v35, v43, -v26
	v_fma_f16 v80, v80, v44, -v27
	v_mul_f16_sdwa v26, v82, v45 dst_sel:DWORD dst_unused:UNUSED_PAD src0_sel:DWORD src1_sel:WORD_1
	ds_read_u16 v27, v0 offset:4320
	s_waitcnt lgkmcnt(3)
	v_mul_f16_sdwa v74, v30, v42 dst_sel:DWORD dst_unused:UNUSED_PAD src0_sel:DWORD src1_sel:WORD_1
	v_fma_f16 v79, v30, v42, -v38
	v_fmac_f16_e32 v107, v66, v39
	v_fma_f16 v96, v96, v45, -v26
	v_fmac_f16_e32 v108, v70, v40
	v_mul_f16_sdwa v77, v35, v43 dst_sel:DWORD dst_unused:UNUSED_PAD src0_sel:DWORD src1_sel:WORD_1
	v_sub_f16_e32 v40, v95, v101
	s_waitcnt vmcnt(2)
	v_mul_f16_sdwa v26, v57, v47 dst_sel:DWORD dst_unused:UNUSED_PAD src0_sel:DWORD src1_sel:WORD_1
	v_mul_f16_sdwa v30, v59, v46 dst_sel:DWORD dst_unused:UNUSED_PAD src0_sel:DWORD src1_sel:WORD_1
	;; [unrolled: 1-line block ×3, first 2 shown]
	s_waitcnt lgkmcnt(2)
	v_mul_f16_sdwa v70, v28, v46 dst_sel:DWORD dst_unused:UNUSED_PAD src0_sel:DWORD src1_sel:WORD_1
	v_sub_f16_e32 v41, v102, v103
	v_fma_f16 v65, v50, v47, -v26
	v_mul_f16_sdwa v26, v71, v48 dst_sel:DWORD dst_unused:UNUSED_PAD src0_sel:DWORD src1_sel:WORD_1
	v_fma_f16 v64, v28, v46, -v30
	v_fmac_f16_e32 v73, v57, v47
	v_mul_f16_sdwa v28, v83, v49 dst_sel:DWORD dst_unused:UNUSED_PAD src0_sel:DWORD src1_sel:WORD_1
	v_fmac_f16_e32 v74, v58, v42
	v_fma_f16 v66, v91, v48, -v26
	v_fmac_f16_e32 v77, v56, v43
	v_fmac_f16_e32 v114, v68, v44
	v_fma_f16 v68, v97, v49, -v28
	v_add_f16_e32 v41, v40, v41
	ds_read_u16 v40, v0
	s_waitcnt vmcnt(1) lgkmcnt(2)
	v_mul_f16_sdwa v57, v29, v52 dst_sel:DWORD dst_unused:UNUSED_PAD src0_sel:DWORD src1_sel:WORD_1
	v_mul_f16_sdwa v26, v60, v52 dst_sel:DWORD dst_unused:UNUSED_PAD src0_sel:DWORD src1_sel:WORD_1
	s_waitcnt lgkmcnt(1)
	v_mul_f16_sdwa v56, v27, v53 dst_sel:DWORD dst_unused:UNUSED_PAD src0_sel:DWORD src1_sel:WORD_1
	v_mul_f16_sdwa v28, v62, v53 dst_sel:DWORD dst_unused:UNUSED_PAD src0_sel:DWORD src1_sel:WORD_1
	;; [unrolled: 1-line block ×3, first 2 shown]
	v_fmac_f16_e32 v57, v60, v52
	v_fma_f16 v52, v29, v52, -v26
	v_mul_f16_sdwa v26, v72, v54 dst_sel:DWORD dst_unused:UNUSED_PAD src0_sel:DWORD src1_sel:WORD_1
	v_fmac_f16_e32 v56, v62, v53
	v_fma_f16 v53, v27, v53, -v28
	v_fmac_f16_e32 v58, v72, v54
	v_fmac_f16_e32 v70, v59, v46
	v_fma_f16 v54, v92, v54, -v26
	v_mul_f16_sdwa v26, v89, v55 dst_sel:DWORD dst_unused:UNUSED_PAD src0_sel:DWORD src1_sel:WORD_1
	v_mul_f16_sdwa v78, v97, v49 dst_sel:DWORD dst_unused:UNUSED_PAD src0_sel:DWORD src1_sel:WORD_1
	v_fmac_f16_e32 v115, v82, v45
	v_sub_f16_e32 v43, v67, v104
	v_add_f16_e32 v45, v11, v95
	v_fma_f16 v59, v98, v55, -v26
	v_fmac_f16_e32 v78, v83, v49
	s_waitcnt vmcnt(0)
	v_mul_f16_sdwa v27, v69, v85 dst_sel:DWORD dst_unused:UNUSED_PAD src0_sel:DWORD src1_sel:WORD_1
	v_mul_f16_sdwa v38, v25, v87 dst_sel:DWORD dst_unused:UNUSED_PAD src0_sel:DWORD src1_sel:WORD_1
	;; [unrolled: 1-line block ×3, first 2 shown]
	v_sub_f16_e32 v39, v100, v106
	v_sub_f16_e32 v46, v103, v102
	v_fma_f16 v26, v75, v85, -v27
	v_mul_f16_sdwa v27, v81, v86 dst_sel:DWORD dst_unused:UNUSED_PAD src0_sel:DWORD src1_sel:WORD_1
	v_fma_f16 v42, v93, v87, -v38
	v_mul_f16_sdwa v38, v90, v88 dst_sel:DWORD dst_unused:UNUSED_PAD src0_sel:DWORD src1_sel:WORD_1
	v_fmac_f16_e32 v35, v25, v87
	v_add_f16_e32 v45, v45, v101
	v_fma_f16 v30, v94, v86, -v27
	v_add_f16_e32 v27, v101, v103
	v_fma_f16 v49, v99, v88, -v38
	v_add_f16_e32 v38, v95, v102
	v_mul_f16_sdwa v60, v98, v55 dst_sel:DWORD dst_unused:UNUSED_PAD src0_sel:DWORD src1_sel:WORD_1
	v_mul_f16_sdwa v76, v91, v48 dst_sel:DWORD dst_unused:UNUSED_PAD src0_sel:DWORD src1_sel:WORD_1
	v_fma_f16 v25, -0.5, v27, v11
	v_sub_f16_e32 v61, v95, v102
	v_fmac_f16_e32 v11, -0.5, v38
	v_sub_f16_e32 v38, v101, v95
	v_fmac_f16_e32 v60, v89, v55
	v_fmamk_f16 v27, v39, 0xbb9c, v25
	v_fmac_f16_e32 v25, 0x3b9c, v39
	v_fmamk_f16 v50, v43, 0x3b9c, v11
	v_fmac_f16_e32 v11, 0xbb9c, v43
	v_add_f16_e32 v38, v38, v46
	v_add_f16_e32 v46, v67, v104
	;; [unrolled: 1-line block ×3, first 2 shown]
	v_fmac_f16_e32 v50, 0xb8b4, v39
	v_fmac_f16_e32 v11, 0x38b4, v39
	v_add_f16_e32 v39, v45, v103
	s_waitcnt lgkmcnt(0)
	v_add_f16_e32 v45, v40, v100
	v_fmac_f16_e32 v76, v71, v48
	v_mul_f16_sdwa v29, v75, v85 dst_sel:DWORD dst_unused:UNUSED_PAD src0_sel:DWORD src1_sel:WORD_1
	v_sub_f16_e32 v47, v100, v67
	v_sub_f16_e32 v48, v106, v104
	v_add_f16_e32 v55, v45, v67
	v_fma_f16 v45, -0.5, v46, v40
	v_sub_f16_e32 v62, v101, v103
	v_fmac_f16_e32 v40, -0.5, v63
	v_fmac_f16_e32 v27, 0xb8b4, v43
	v_fmac_f16_e32 v25, 0x38b4, v43
	v_fmamk_f16 v46, v61, 0x3b9c, v45
	v_fmac_f16_e32 v45, 0xbb9c, v61
	v_fmac_f16_e32 v29, v69, v85
	v_add_f16_e32 v69, v47, v48
	v_add_f16_e32 v47, v55, v104
	v_sub_f16_e32 v55, v67, v100
	v_fmac_f16_e32 v46, 0x38b4, v62
	v_fmac_f16_e32 v45, 0xb8b4, v62
	v_sub_f16_e32 v63, v104, v106
	v_fmamk_f16 v48, v62, 0xbb9c, v40
	v_fmac_f16_e32 v40, 0x3b9c, v62
	v_add_f16_e32 v62, v107, v108
	v_fmac_f16_e32 v27, 0x34f2, v41
	v_fmac_f16_e32 v25, 0x34f2, v41
	;; [unrolled: 1-line block ×4, first 2 shown]
	v_add_f16_e32 v51, v39, v102
	ds_read_u16 v43, v0 offset:270
	ds_read_u16 v41, v0 offset:540
	;; [unrolled: 1-line block ×4, first 2 shown]
	v_fmac_f16_e32 v46, 0x34f2, v69
	v_fmac_f16_e32 v45, 0x34f2, v69
	v_add_f16_e32 v63, v55, v63
	v_sub_f16_e32 v67, v105, v107
	v_sub_f16_e32 v69, v111, v108
	v_fma_f16 v55, -0.5, v62, v10
	v_sub_f16_e32 v71, v109, v113
	v_fmac_f16_e32 v48, 0x38b4, v61
	v_fmac_f16_e32 v40, 0xb8b4, v61
	v_add_f16_e32 v62, v105, v111
	v_add_f16_e32 v67, v67, v69
	;; [unrolled: 1-line block ×3, first 2 shown]
	v_fmamk_f16 v61, v71, 0xbb9c, v55
	v_sub_f16_e32 v72, v110, v112
	v_fmac_f16_e32 v55, 0x3b9c, v71
	v_mul_f16_sdwa v28, v94, v86 dst_sel:DWORD dst_unused:UNUSED_PAD src0_sel:DWORD src1_sel:WORD_1
	v_fmac_f16_e32 v10, -0.5, v62
	v_add_f16_e32 v69, v69, v107
	v_fmac_f16_e32 v61, 0xb8b4, v72
	v_fmac_f16_e32 v55, 0x38b4, v72
	;; [unrolled: 1-line block ×3, first 2 shown]
	v_sub_f16_e32 v75, v107, v105
	v_sub_f16_e32 v81, v108, v111
	v_fmamk_f16 v62, v72, 0x3b9c, v10
	v_fmac_f16_e32 v10, 0xbb9c, v72
	v_fmac_f16_e32 v48, 0x34f2, v63
	;; [unrolled: 1-line block ×3, first 2 shown]
	v_add_f16_e32 v63, v69, v108
	v_fmac_f16_e32 v61, 0x34f2, v67
	v_fmac_f16_e32 v55, 0x34f2, v67
	s_waitcnt lgkmcnt(3)
	v_add_f16_e32 v67, v43, v109
	v_add_f16_e32 v69, v110, v112
	;; [unrolled: 1-line block ×3, first 2 shown]
	v_fmac_f16_e32 v62, 0xb8b4, v71
	v_fmac_f16_e32 v10, 0x38b4, v71
	v_sub_f16_e32 v81, v105, v111
	v_add_f16_e32 v75, v67, v110
	v_fma_f16 v67, -0.5, v69, v43
	v_add_f16_e32 v83, v109, v113
	v_fmac_f16_e32 v62, 0x34f2, v72
	v_fmac_f16_e32 v10, 0x34f2, v72
	v_sub_f16_e32 v71, v109, v110
	v_sub_f16_e32 v72, v113, v112
	;; [unrolled: 1-line block ×3, first 2 shown]
	v_fmamk_f16 v69, v81, 0x3b9c, v67
	v_fmac_f16_e32 v67, 0xbb9c, v81
	v_fmac_f16_e32 v43, -0.5, v83
	v_add_f16_e32 v85, v71, v72
	v_add_f16_e32 v71, v75, v112
	v_sub_f16_e32 v75, v110, v109
	v_fmac_f16_e32 v69, 0x38b4, v82
	v_fmac_f16_e32 v67, 0xb8b4, v82
	v_sub_f16_e32 v83, v112, v113
	v_fmamk_f16 v72, v82, 0xbb9c, v43
	v_fmac_f16_e32 v43, 0x3b9c, v82
	v_add_f16_e32 v82, v77, v114
	v_mul_f16_sdwa v44, v99, v88 dst_sel:DWORD dst_unused:UNUSED_PAD src0_sel:DWORD src1_sel:WORD_1
	v_fmac_f16_e32 v69, 0x34f2, v85
	v_fmac_f16_e32 v67, 0x34f2, v85
	v_add_f16_e32 v83, v75, v83
	v_sub_f16_e32 v85, v74, v77
	v_sub_f16_e32 v86, v115, v114
	v_fma_f16 v75, -0.5, v82, v9
	v_sub_f16_e32 v87, v79, v96
	v_fmac_f16_e32 v44, v90, v88
	v_fmac_f16_e32 v72, 0x38b4, v81
	;; [unrolled: 1-line block ×3, first 2 shown]
	v_add_f16_e32 v82, v74, v115
	v_add_f16_e32 v85, v85, v86
	;; [unrolled: 1-line block ×3, first 2 shown]
	v_fmamk_f16 v81, v87, 0xbb9c, v75
	v_sub_f16_e32 v88, v84, v80
	v_fmac_f16_e32 v75, 0x3b9c, v87
	v_fmac_f16_e32 v9, -0.5, v82
	v_add_f16_e32 v86, v86, v77
	v_sub_f16_e32 v89, v77, v74
	v_fmac_f16_e32 v81, 0xb8b4, v88
	v_fmac_f16_e32 v75, 0x38b4, v88
	v_sub_f16_e32 v90, v114, v115
	v_fmamk_f16 v82, v88, 0x3b9c, v9
	v_fmac_f16_e32 v9, 0xbb9c, v88
	v_fmac_f16_e32 v72, 0x34f2, v83
	;; [unrolled: 1-line block ×3, first 2 shown]
	v_add_f16_e32 v83, v86, v114
	v_fmac_f16_e32 v81, 0x34f2, v85
	v_fmac_f16_e32 v75, 0x34f2, v85
	s_waitcnt lgkmcnt(2)
	v_add_f16_e32 v85, v41, v79
	v_add_f16_e32 v86, v84, v80
	v_add_f16_e32 v88, v89, v90
	v_fmac_f16_e32 v82, 0xb8b4, v87
	v_fmac_f16_e32 v9, 0x38b4, v87
	v_sub_f16_e32 v87, v74, v115
	v_add_f16_e32 v85, v85, v84
	v_fma_f16 v74, -0.5, v86, v41
	v_add_f16_e32 v90, v79, v96
	v_fmac_f16_e32 v82, 0x34f2, v88
	v_fmac_f16_e32 v9, 0x34f2, v88
	v_sub_f16_e32 v88, v79, v84
	v_sub_f16_e32 v89, v96, v80
	;; [unrolled: 1-line block ×3, first 2 shown]
	v_add_f16_e32 v85, v85, v80
	v_fmamk_f16 v77, v87, 0x3b9c, v74
	v_fmac_f16_e32 v74, 0xbb9c, v87
	v_fmac_f16_e32 v41, -0.5, v90
	v_add_f16_e32 v88, v88, v89
	v_sub_f16_e32 v84, v84, v79
	v_add_f16_e32 v79, v85, v96
	v_fmac_f16_e32 v77, 0x38b4, v86
	v_fmac_f16_e32 v74, 0xb8b4, v86
	v_sub_f16_e32 v85, v80, v96
	v_fmamk_f16 v80, v86, 0xbb9c, v41
	v_fmac_f16_e32 v41, 0x3b9c, v86
	v_fmac_f16_e32 v77, 0x34f2, v88
	;; [unrolled: 1-line block ×3, first 2 shown]
	v_add_f16_e32 v86, v73, v76
	v_add_f16_e32 v84, v84, v85
	v_fmac_f16_e32 v80, 0x38b4, v87
	v_sub_f16_e32 v85, v70, v73
	v_sub_f16_e32 v88, v78, v76
	v_fmac_f16_e32 v41, 0xb8b4, v87
	v_add_f16_e32 v87, v70, v78
	v_fma_f16 v86, -0.5, v86, v7
	v_sub_f16_e32 v89, v64, v68
	v_add_f16_e32 v85, v85, v88
	v_add_f16_e32 v88, v7, v70
	v_sub_f16_e32 v91, v65, v66
	v_fmac_f16_e32 v7, -0.5, v87
	v_fmamk_f16 v90, v89, 0xbb9c, v86
	v_fmac_f16_e32 v86, 0x3b9c, v89
	v_sub_f16_e32 v87, v73, v70
	v_sub_f16_e32 v92, v76, v78
	v_fmamk_f16 v93, v91, 0x3b9c, v7
	v_fmac_f16_e32 v7, 0xbb9c, v91
	v_fmac_f16_e32 v90, 0xb8b4, v91
	;; [unrolled: 1-line block ×3, first 2 shown]
	v_add_f16_e32 v87, v87, v92
	v_add_f16_e32 v88, v88, v73
	v_fmac_f16_e32 v93, 0xb8b4, v89
	v_fmac_f16_e32 v7, 0x38b4, v89
	;; [unrolled: 1-line block ×4, first 2 shown]
	v_add_f16_e32 v84, v88, v76
	v_fmac_f16_e32 v90, 0x34f2, v85
	v_fmac_f16_e32 v86, 0x34f2, v85
	;; [unrolled: 1-line block ×4, first 2 shown]
	s_waitcnt lgkmcnt(1)
	v_add_f16_e32 v85, v39, v64
	v_add_f16_e32 v87, v65, v66
	v_add_f16_e32 v84, v84, v78
	v_sub_f16_e32 v70, v70, v78
	v_sub_f16_e32 v88, v64, v65
	v_sub_f16_e32 v89, v68, v66
	v_add_f16_e32 v85, v85, v65
	v_fma_f16 v78, -0.5, v87, v39
	v_sub_f16_e32 v76, v73, v76
	v_add_f16_e32 v73, v64, v68
	v_add_f16_e32 v87, v88, v89
	;; [unrolled: 1-line block ×3, first 2 shown]
	v_fmamk_f16 v88, v70, 0x3b9c, v78
	v_fmac_f16_e32 v78, 0xbb9c, v70
	v_fmac_f16_e32 v39, -0.5, v73
	v_sub_f16_e32 v64, v65, v64
	v_sub_f16_e32 v65, v66, v68
	v_add_f16_e32 v66, v56, v58
	v_add_f16_e32 v85, v85, v68
	v_fmac_f16_e32 v88, 0x38b4, v76
	v_fmac_f16_e32 v78, 0xb8b4, v76
	v_fmamk_f16 v73, v76, 0xbb9c, v39
	v_fmac_f16_e32 v39, 0x3b9c, v76
	v_add_f16_e32 v64, v64, v65
	v_sub_f16_e32 v65, v57, v56
	v_sub_f16_e32 v68, v60, v58
	v_fma_f16 v66, -0.5, v66, v5
	v_sub_f16_e32 v76, v52, v59
	v_fmac_f16_e32 v88, 0x34f2, v87
	v_fmac_f16_e32 v78, 0x34f2, v87
	;; [unrolled: 1-line block ×4, first 2 shown]
	v_add_f16_e32 v70, v57, v60
	v_add_f16_e32 v65, v65, v68
	;; [unrolled: 1-line block ×3, first 2 shown]
	v_fmamk_f16 v87, v76, 0xbb9c, v66
	v_sub_f16_e32 v89, v53, v54
	v_fmac_f16_e32 v66, 0x3b9c, v76
	v_fmac_f16_e32 v5, -0.5, v70
	v_add_f16_e32 v68, v68, v56
	v_sub_f16_e32 v70, v56, v57
	v_fmac_f16_e32 v87, 0xb8b4, v89
	v_fmac_f16_e32 v66, 0x38b4, v89
	v_sub_f16_e32 v91, v58, v60
	v_fmamk_f16 v92, v89, 0x3b9c, v5
	v_fmac_f16_e32 v5, 0xbb9c, v89
	v_fmac_f16_e32 v73, 0x34f2, v64
	;; [unrolled: 1-line block ×3, first 2 shown]
	v_add_f16_e32 v64, v68, v58
	v_fmac_f16_e32 v87, 0x34f2, v65
	v_fmac_f16_e32 v66, 0x34f2, v65
	s_waitcnt lgkmcnt(0)
	v_add_f16_e32 v65, v38, v52
	v_add_f16_e32 v68, v53, v54
	;; [unrolled: 1-line block ×3, first 2 shown]
	v_fmac_f16_e32 v92, 0xb8b4, v76
	v_fmac_f16_e32 v5, 0x38b4, v76
	v_sub_f16_e32 v57, v57, v60
	v_add_f16_e32 v65, v65, v53
	v_fma_f16 v76, -0.5, v68, v38
	v_sub_f16_e32 v56, v56, v58
	v_add_f16_e32 v58, v52, v59
	v_fmac_f16_e32 v92, 0x34f2, v70
	v_fmac_f16_e32 v5, 0x34f2, v70
	v_add_f16_e32 v64, v64, v60
	v_sub_f16_e32 v60, v52, v53
	v_sub_f16_e32 v70, v59, v54
	v_add_f16_e32 v65, v65, v54
	v_fmamk_f16 v89, v57, 0x3b9c, v76
	v_fmac_f16_e32 v76, 0xbb9c, v57
	v_fmac_f16_e32 v38, -0.5, v58
	v_sub_f16_e32 v52, v53, v52
	v_sub_f16_e32 v53, v54, v59
	v_add_f16_e32 v54, v28, v35
	v_add_f16_e32 v60, v60, v70
	v_fmac_f16_e32 v89, 0x38b4, v56
	v_fmac_f16_e32 v76, 0xb8b4, v56
	v_fmamk_f16 v94, v56, 0xbb9c, v38
	v_fmac_f16_e32 v38, 0x3b9c, v56
	v_add_f16_e32 v52, v52, v53
	v_sub_f16_e32 v53, v29, v28
	v_sub_f16_e32 v56, v44, v35
	v_fma_f16 v54, -0.5, v54, v8
	v_sub_f16_e32 v58, v26, v49
	v_add_f16_e32 v91, v65, v59
	v_fmac_f16_e32 v89, 0x34f2, v60
	v_fmac_f16_e32 v76, 0x34f2, v60
	v_add_f16_e32 v53, v53, v56
	v_add_f16_e32 v56, v8, v29
	v_fmamk_f16 v59, v58, 0xbb9c, v54
	v_sub_f16_e32 v60, v30, v42
	v_fmac_f16_e32 v54, 0x3b9c, v58
	v_fmac_f16_e32 v94, 0x38b4, v57
	;; [unrolled: 1-line block ×3, first 2 shown]
	v_add_f16_e32 v57, v29, v44
	v_fmac_f16_e32 v59, 0xb8b4, v60
	v_fmac_f16_e32 v54, 0x38b4, v60
	v_add_f16_e32 v56, v56, v28
	v_fmac_f16_e32 v94, 0x34f2, v52
	v_fmac_f16_e32 v8, -0.5, v57
	v_fmac_f16_e32 v38, 0x34f2, v52
	v_fmac_f16_e32 v59, 0x34f2, v53
	v_add_f16_e32 v52, v56, v35
	v_fmac_f16_e32 v54, 0x34f2, v53
	v_add_f16_e32 v53, v14, v26
	v_sub_f16_e32 v57, v28, v29
	v_sub_f16_e32 v65, v35, v44
	v_fmamk_f16 v68, v60, 0x3b9c, v8
	v_fmac_f16_e32 v8, 0xbb9c, v60
	v_add_f16_e32 v52, v52, v44
	v_sub_f16_e32 v29, v29, v44
	v_add_f16_e32 v44, v30, v42
	v_add_f16_e32 v53, v53, v30
	;; [unrolled: 1-line block ×3, first 2 shown]
	v_fmac_f16_e32 v68, 0xb8b4, v58
	v_fmac_f16_e32 v8, 0x38b4, v58
	v_fma_f16 v95, -0.5, v44, v14
	v_add_f16_e32 v44, v53, v42
	v_sub_f16_e32 v56, v26, v30
	v_fmac_f16_e32 v68, 0x34f2, v57
	v_fmac_f16_e32 v8, 0x34f2, v57
	v_sub_f16_e32 v57, v49, v42
	v_add_f16_e32 v58, v26, v49
	v_sub_f16_e32 v26, v30, v26
	v_add_f16_e32 v97, v44, v49
	v_sub_f16_e32 v30, v42, v49
	v_mov_b32_e32 v44, 0x64
	v_mov_b32_e32 v42, 1
	s_barrier
	buffer_gl0_inv
	v_mul_u32_u24_sdwa v12, v12, v44 dst_sel:DWORD dst_unused:UNUSED_PAD src0_sel:WORD_0 src1_sel:DWORD
	v_lshlrev_b32_sdwa v13, v42, v13 dst_sel:DWORD dst_unused:UNUSED_PAD src0_sel:DWORD src1_sel:BYTE_0
	v_add_f16_e32 v63, v63, v111
	v_add_f16_e32 v83, v83, v115
	v_sub_f16_e32 v28, v28, v35
	v_fmac_f16_e32 v14, -0.5, v58
	v_add3_u32 v12, 0, v12, v13
	v_mul_u32_u24_e32 v13, 0x64, v15
	v_lshlrev_b32_sdwa v15, v42, v16 dst_sel:DWORD dst_unused:UNUSED_PAD src0_sel:DWORD src1_sel:WORD_0
	ds_write_b16 v12, v51
	ds_write_b16 v12, v27 offset:20
	ds_write_b16 v12, v50 offset:40
	;; [unrolled: 1-line block ×3, first 2 shown]
	v_add3_u32 v13, 0, v13, v15
	v_mul_u32_u24_e32 v11, 0x64, v17
	v_lshlrev_b32_sdwa v15, v42, v18 dst_sel:DWORD dst_unused:UNUSED_PAD src0_sel:DWORD src1_sel:WORD_0
	ds_write_b16 v12, v25 offset:80
	ds_write_b16 v13, v63
	ds_write_b16 v13, v61 offset:20
	ds_write_b16 v13, v62 offset:40
	;; [unrolled: 1-line block ×3, first 2 shown]
	v_mul_u32_u24_e32 v10, 0x64, v19
	v_add3_u32 v11, 0, v11, v15
	v_lshlrev_b32_sdwa v15, v42, v20 dst_sel:DWORD dst_unused:UNUSED_PAD src0_sel:DWORD src1_sel:WORD_0
	v_lshlrev_b32_sdwa v16, v42, v24 dst_sel:DWORD dst_unused:UNUSED_PAD src0_sel:DWORD src1_sel:WORD_0
	ds_write_b16 v13, v55 offset:80
	ds_write_b16 v11, v83
	ds_write_b16 v11, v81 offset:20
	ds_write_b16 v11, v82 offset:40
	v_fmamk_f16 v96, v29, 0x3b9c, v95
	v_add3_u32 v10, 0, v10, v15
	v_mul_u32_u24_e32 v15, 0x64, v22
	ds_write_b16 v11, v9 offset:60
	ds_write_b16 v11, v75 offset:80
	ds_write_b16 v10, v84
	ds_write_b16 v10, v90 offset:20
	v_fmac_f16_e32 v95, 0xbb9c, v29
	v_fmamk_f16 v98, v28, 0xbb9c, v14
	v_add3_u32 v9, 0, v15, v16
	v_mul_u32_u24_e32 v15, 0x64, v21
	v_lshlrev_b32_sdwa v16, v42, v23 dst_sel:DWORD dst_unused:UNUSED_PAD src0_sel:DWORD src1_sel:WORD_0
	v_fmac_f16_e32 v14, 0x3b9c, v28
	ds_write_b16 v10, v93 offset:40
	ds_write_b16 v10, v7 offset:60
	;; [unrolled: 1-line block ×3, first 2 shown]
	ds_write_b16 v9, v64
	v_add_f16_e32 v47, v47, v106
	v_add_f16_e32 v35, v56, v57
	v_add3_u32 v7, 0, v15, v16
	v_fmac_f16_e32 v96, 0x38b4, v28
	v_fmac_f16_e32 v95, 0xb8b4, v28
	v_add_f16_e32 v26, v26, v30
	v_fmac_f16_e32 v98, 0x38b4, v29
	v_fmac_f16_e32 v14, 0xb8b4, v29
	ds_write_b16 v9, v87 offset:20
	ds_write_b16 v9, v92 offset:40
	ds_write_b16 v9, v5 offset:60
	ds_write_b16 v9, v66 offset:80
	ds_write_b16 v7, v52
	ds_write_b16 v7, v59 offset:20
	ds_write_b16 v7, v68 offset:40
	ds_write_b16 v7, v8 offset:60
	ds_write_b16 v7, v54 offset:80
	v_lshlrev_b32_e32 v5, 1, v31
	v_mov_b32_e32 v81, 0x147b
	v_lshrrev_b16 v16, 1, v33
	v_add_f16_e32 v71, v71, v113
	v_fmac_f16_e32 v96, 0x34f2, v35
	v_fmac_f16_e32 v95, 0x34f2, v35
	;; [unrolled: 1-line block ×4, first 2 shown]
	s_waitcnt lgkmcnt(0)
	s_barrier
	buffer_gl0_inv
	ds_read_u16 v44, v0
	ds_read_u16 v29, v0 offset:270
	ds_read_u16 v30, v0 offset:540
	;; [unrolled: 1-line block ×12, first 2 shown]
	v_add_nc_u32_e32 v35, 0, v5
	ds_read_u16 v66, v0 offset:2970
	ds_read_u16 v64, v0 offset:3240
	;; [unrolled: 1-line block ×17, first 2 shown]
	s_waitcnt lgkmcnt(0)
	s_barrier
	buffer_gl0_inv
	ds_write_b16 v12, v47
	ds_write_b16 v12, v46 offset:20
	ds_write_b16 v12, v48 offset:40
	ds_write_b16 v12, v40 offset:60
	ds_write_b16 v12, v45 offset:80
	ds_write_b16 v13, v71
	ds_write_b16 v13, v69 offset:20
	ds_write_b16 v13, v72 offset:40
	ds_write_b16 v13, v43 offset:60
	ds_write_b16 v13, v67 offset:80
	;; [unrolled: 5-line block ×3, first 2 shown]
	ds_write_b16 v10, v85
	ds_write_b16 v10, v88 offset:20
	v_mul_u32_u24_sdwa v11, v16, v81 dst_sel:DWORD dst_unused:UNUSED_PAD src0_sel:WORD_0 src1_sel:DWORD
	ds_write_b16 v10, v73 offset:40
	ds_write_b16 v10, v39 offset:60
	ds_write_b16 v10, v78 offset:80
	ds_write_b16 v9, v91
	ds_write_b16 v9, v89 offset:20
	ds_write_b16 v9, v94 offset:40
	;; [unrolled: 1-line block ×4, first 2 shown]
	v_lshrrev_b16 v17, 1, v34
	v_add_nc_u32_e32 v38, 0x32a, v31
	v_lshrrev_b32_e32 v73, 17, v11
	v_lshrrev_b16 v45, 11, v6
	v_lshrrev_b16 v8, 1, v37
	v_mul_u32_u24_sdwa v19, v17, v81 dst_sel:DWORD dst_unused:UNUSED_PAD src0_sel:WORD_0 src1_sel:DWORD
	v_lshrrev_b16 v20, 1, v38
	v_mul_lo_u16 v23, v73, 50
	v_mul_lo_u16 v6, v45, 50
	ds_write_b16 v7, v97
	ds_write_b16 v7, v96 offset:20
	v_lshrrev_b32_e32 v74, 17, v19
	ds_write_b16 v7, v98 offset:40
	ds_write_b16 v7, v14 offset:60
	;; [unrolled: 1-line block ×3, first 2 shown]
	v_sub_nc_u16 v76, v33, v23
	v_mul_u32_u24_sdwa v23, v20, v81 dst_sel:DWORD dst_unused:UNUSED_PAD src0_sel:WORD_0 src1_sel:DWORD
	v_lshrrev_b16 v14, 1, v36
	v_mul_lo_u16 v24, v74, 50
	v_sub_nc_u16 v47, v31, v6
	v_mul_u32_u24_sdwa v6, v8, v81 dst_sel:DWORD dst_unused:UNUSED_PAD src0_sel:WORD_0 src1_sel:DWORD
	v_lshrrev_b32_e32 v75, 17, v23
	v_lshrrev_b16 v15, 1, v32
	v_mul_u32_u24_sdwa v8, v14, v81 dst_sel:DWORD dst_unused:UNUSED_PAD src0_sel:WORD_0 src1_sel:DWORD
	v_sub_nc_u16 v77, v34, v24
	v_mov_b32_e32 v43, 3
	v_mul_lo_u16 v24, v75, 50
	v_lshrrev_b32_e32 v46, 17, v6
	v_mul_u32_u24_sdwa v10, v15, v81 dst_sel:DWORD dst_unused:UNUSED_PAD src0_sel:WORD_0 src1_sel:DWORD
	v_lshrrev_b32_e32 v67, 17, v8
	v_add_nc_u32_e32 v39, 0x3b1, v31
	v_sub_nc_u16 v79, v38, v24
	v_lshlrev_b32_sdwa v7, v43, v47 dst_sel:DWORD dst_unused:UNUSED_PAD src0_sel:DWORD src1_sel:BYTE_0
	v_mul_lo_u16 v9, v46, 50
	v_lshrrev_b32_e32 v48, 17, v10
	v_mul_lo_u16 v8, v67, 50
	v_lshrrev_b16 v19, 1, v39
	v_lshlrev_b32_sdwa v40, v43, v76 dst_sel:DWORD dst_unused:UNUSED_PAD src0_sel:DWORD src1_sel:WORD_0
	v_lshlrev_b32_sdwa v41, v43, v77 dst_sel:DWORD dst_unused:UNUSED_PAD src0_sel:DWORD src1_sel:WORD_0
	;; [unrolled: 1-line block ×3, first 2 shown]
	s_waitcnt lgkmcnt(0)
	s_barrier
	buffer_gl0_inv
	global_load_dwordx2 v[6:7], v7, s[12:13] offset:160
	v_sub_nc_u16 v69, v37, v9
	v_mul_lo_u16 v10, v48, 50
	v_sub_nc_u16 v72, v36, v8
	v_mul_u32_u24_sdwa v23, v19, v81 dst_sel:DWORD dst_unused:UNUSED_PAD src0_sel:WORD_0 src1_sel:DWORD
	s_clause 0x2
	global_load_dwordx2 v[85:86], v40, s[12:13] offset:160
	global_load_dwordx2 v[87:88], v41, s[12:13] offset:160
	;; [unrolled: 1-line block ×3, first 2 shown]
	v_add_nc_u32_e32 v40, 0x438, v31
	v_lshlrev_b32_sdwa v9, v43, v69 dst_sel:DWORD dst_unused:UNUSED_PAD src0_sel:DWORD src1_sel:WORD_0
	v_sub_nc_u16 v71, v32, v10
	v_lshlrev_b32_sdwa v10, v43, v72 dst_sel:DWORD dst_unused:UNUSED_PAD src0_sel:DWORD src1_sel:WORD_0
	v_lshrrev_b32_e32 v78, 17, v23
	v_lshrrev_b16 v23, 1, v40
	global_load_dwordx2 v[8:9], v9, s[12:13] offset:160
	v_lshlrev_b32_sdwa v12, v43, v71 dst_sel:DWORD dst_unused:UNUSED_PAD src0_sel:DWORD src1_sel:WORD_0
	global_load_dwordx2 v[10:11], v10, s[12:13] offset:160
	v_mul_lo_u16 v24, v78, 50
	v_mul_u32_u24_sdwa v80, v23, v81 dst_sel:DWORD dst_unused:UNUSED_PAD src0_sel:WORD_0 src1_sel:DWORD
	v_add_nc_u32_e32 v41, 0x4bf, v31
	global_load_dwordx2 v[12:13], v12, s[12:13] offset:160
	v_lshlrev_b32_sdwa v47, v42, v47 dst_sel:DWORD dst_unused:UNUSED_PAD src0_sel:DWORD src1_sel:BYTE_0
	v_sub_nc_u16 v82, v39, v24
	v_lshrrev_b32_e32 v80, 17, v80
	v_lshrrev_b16 v24, 1, v41
	v_mul_u32_u24_e32 v46, 0x12c, v46
	v_mul_u32_u24_e32 v48, 0x12c, v48
	v_lshlrev_b32_sdwa v83, v43, v82 dst_sel:DWORD dst_unused:UNUSED_PAD src0_sel:DWORD src1_sel:WORD_0
	v_mul_lo_u16 v84, v80, 50
	v_mul_u32_u24_sdwa v81, v24, v81 dst_sel:DWORD dst_unused:UNUSED_PAD src0_sel:WORD_0 src1_sel:DWORD
	global_load_dwordx2 v[91:92], v83, s[12:13] offset:160
	v_sub_nc_u16 v84, v40, v84
	v_lshrrev_b32_e32 v81, 17, v81
	v_lshlrev_b32_sdwa v93, v43, v84 dst_sel:DWORD dst_unused:UNUSED_PAD src0_sel:DWORD src1_sel:WORD_0
	global_load_dwordx2 v[93:94], v93, s[12:13] offset:160
	v_mul_lo_u16 v83, v81, 50
	v_sub_nc_u16 v83, v41, v83
	v_lshlrev_b32_sdwa v95, v43, v83 dst_sel:DWORD dst_unused:UNUSED_PAD src0_sel:DWORD src1_sel:WORD_0
	global_load_dwordx2 v[95:96], v95, s[12:13] offset:160
	ds_read_u16 v97, v0 offset:2700
	ds_read_u16 v98, v0 offset:5400
	;; [unrolled: 1-line block ×18, first 2 shown]
	s_waitcnt vmcnt(9) lgkmcnt(17)
	v_mul_f16_sdwa v101, v97, v6 dst_sel:DWORD dst_unused:UNUSED_PAD src0_sel:DWORD src1_sel:WORD_1
	v_mul_f16_sdwa v102, v65, v6 dst_sel:DWORD dst_unused:UNUSED_PAD src0_sel:DWORD src1_sel:WORD_1
	s_waitcnt lgkmcnt(16)
	v_mul_f16_sdwa v111, v98, v7 dst_sel:DWORD dst_unused:UNUSED_PAD src0_sel:DWORD src1_sel:WORD_1
	v_fmac_f16_e32 v101, v65, v6
	v_mul_f16_sdwa v65, v70, v7 dst_sel:DWORD dst_unused:UNUSED_PAD src0_sel:DWORD src1_sel:WORD_1
	v_fmac_f16_e32 v111, v70, v7
	v_fma_f16 v6, v97, v6, -v102
	v_fma_f16 v7, v98, v7, -v65
	s_waitcnt vmcnt(5) lgkmcnt(14)
	v_mul_f16_sdwa v118, v100, v8 dst_sel:DWORD dst_unused:UNUSED_PAD src0_sel:DWORD src1_sel:WORD_1
	v_mul_f16_sdwa v65, v66, v8 dst_sel:DWORD dst_unused:UNUSED_PAD src0_sel:DWORD src1_sel:WORD_1
	s_waitcnt vmcnt(4) lgkmcnt(13)
	v_mul_f16_sdwa v98, v103, v10 dst_sel:DWORD dst_unused:UNUSED_PAD src0_sel:DWORD src1_sel:WORD_1
	s_waitcnt lgkmcnt(12)
	v_mul_f16_sdwa v97, v104, v9 dst_sel:DWORD dst_unused:UNUSED_PAD src0_sel:DWORD src1_sel:WORD_1
	v_fmac_f16_e32 v118, v66, v8
	v_fma_f16 v8, v100, v8, -v65
	v_mul_f16_sdwa v65, v64, v10 dst_sel:DWORD dst_unused:UNUSED_PAD src0_sel:DWORD src1_sel:WORD_1
	v_fmac_f16_e32 v98, v64, v10
	s_waitcnt lgkmcnt(11)
	v_mul_f16_sdwa v100, v105, v11 dst_sel:DWORD dst_unused:UNUSED_PAD src0_sel:DWORD src1_sel:WORD_1
	v_mul_f16_sdwa v64, v62, v11 dst_sel:DWORD dst_unused:UNUSED_PAD src0_sel:DWORD src1_sel:WORD_1
	;; [unrolled: 1-line block ×3, first 2 shown]
	v_fma_f16 v10, v103, v10, -v65
	s_waitcnt vmcnt(3) lgkmcnt(10)
	v_mul_f16_sdwa v103, v106, v13 dst_sel:DWORD dst_unused:UNUSED_PAD src0_sel:DWORD src1_sel:WORD_1
	v_fmac_f16_e32 v100, v62, v11
	v_fma_f16 v11, v105, v11, -v64
	v_mul_f16_sdwa v62, v60, v13 dst_sel:DWORD dst_unused:UNUSED_PAD src0_sel:DWORD src1_sel:WORD_1
	s_waitcnt lgkmcnt(9)
	v_mul_f16_sdwa v105, v107, v86 dst_sel:DWORD dst_unused:UNUSED_PAD src0_sel:DWORD src1_sel:WORD_1
	v_fmac_f16_e32 v103, v60, v13
	v_fmac_f16_e32 v97, v68, v9
	v_fma_f16 v9, v104, v9, -v66
	v_fma_f16 v13, v106, v13, -v62
	v_mul_f16_sdwa v62, v58, v86 dst_sel:DWORD dst_unused:UNUSED_PAD src0_sel:DWORD src1_sel:WORD_1
	v_fmac_f16_e32 v105, v58, v86
	s_waitcnt lgkmcnt(3)
	v_mul_f16_sdwa v106, v114, v87 dst_sel:DWORD dst_unused:UNUSED_PAD src0_sel:DWORD src1_sel:WORD_1
	v_mul_f16_sdwa v58, v59, v87 dst_sel:DWORD dst_unused:UNUSED_PAD src0_sel:DWORD src1_sel:WORD_1
	;; [unrolled: 1-line block ×6, first 2 shown]
	v_fmac_f16_e32 v106, v59, v87
	ds_read_u16 v59, v0 offset:7290
	v_fma_f16 v87, v114, v87, -v58
	ds_read_u16 v58, v0 offset:7560
	v_fmac_f16_e32 v104, v61, v85
	v_fma_f16 v85, v113, v85, -v60
	v_fma_f16 v86, v107, v86, -v62
	v_mul_f16_sdwa v107, v108, v88 dst_sel:DWORD dst_unused:UNUSED_PAD src0_sel:DWORD src1_sel:WORD_1
	v_mul_f16_sdwa v60, v56, v88 dst_sel:DWORD dst_unused:UNUSED_PAD src0_sel:DWORD src1_sel:WORD_1
	v_fmac_f16_e32 v102, v63, v12
	v_fma_f16 v12, v112, v12, -v65
	v_mul_f16_sdwa v112, v109, v90 dst_sel:DWORD dst_unused:UNUSED_PAD src0_sel:DWORD src1_sel:WORD_1
	v_fmac_f16_e32 v107, v56, v88
	v_fma_f16 v88, v108, v88, -v60
	s_waitcnt lgkmcnt(4)
	v_mul_f16_sdwa v108, v115, v89 dst_sel:DWORD dst_unused:UNUSED_PAD src0_sel:DWORD src1_sel:WORD_1
	v_mul_f16_sdwa v56, v57, v89 dst_sel:DWORD dst_unused:UNUSED_PAD src0_sel:DWORD src1_sel:WORD_1
	;; [unrolled: 1-line block ×3, first 2 shown]
	s_waitcnt vmcnt(2) lgkmcnt(3)
	v_mul_f16_sdwa v113, v116, v91 dst_sel:DWORD dst_unused:UNUSED_PAD src0_sel:DWORD src1_sel:WORD_1
	v_fmac_f16_e32 v112, v54, v90
	v_mul_f16_sdwa v54, v55, v91 dst_sel:DWORD dst_unused:UNUSED_PAD src0_sel:DWORD src1_sel:WORD_1
	v_fmac_f16_e32 v108, v57, v89
	v_fma_f16 v89, v115, v89, -v56
	v_fma_f16 v90, v109, v90, -v60
	v_fmac_f16_e32 v113, v55, v91
	ds_read_u16 v55, v0 offset:7830
	ds_read_u16 v109, v35 offset:2430
	;; [unrolled: 1-line block ×4, first 2 shown]
	v_fma_f16 v91, v116, v91, -v54
	s_waitcnt vmcnt(1) lgkmcnt(6)
	v_mul_f16_sdwa v116, v117, v93 dst_sel:DWORD dst_unused:UNUSED_PAD src0_sel:DWORD src1_sel:WORD_1
	v_mul_f16_sdwa v56, v52, v93 dst_sel:DWORD dst_unused:UNUSED_PAD src0_sel:DWORD src1_sel:WORD_1
	s_waitcnt lgkmcnt(4)
	v_mul_f16_sdwa v120, v58, v94 dst_sel:DWORD dst_unused:UNUSED_PAD src0_sel:DWORD src1_sel:WORD_1
	s_waitcnt vmcnt(0)
	v_mul_f16_sdwa v121, v110, v95 dst_sel:DWORD dst_unused:UNUSED_PAD src0_sel:DWORD src1_sel:WORD_1
	v_mul_f16_sdwa v119, v59, v92 dst_sel:DWORD dst_unused:UNUSED_PAD src0_sel:DWORD src1_sel:WORD_1
	v_fmac_f16_e32 v116, v52, v93
	v_fma_f16 v93, v117, v93, -v56
	ds_read_u16 v117, v0
	v_mul_f16_sdwa v52, v51, v94 dst_sel:DWORD dst_unused:UNUSED_PAD src0_sel:DWORD src1_sel:WORD_1
	v_fmac_f16_e32 v120, v51, v94
	v_mul_f16_sdwa v51, v49, v95 dst_sel:DWORD dst_unused:UNUSED_PAD src0_sel:DWORD src1_sel:WORD_1
	v_fmac_f16_e32 v121, v49, v95
	v_add_f16_e32 v49, v101, v111
	v_mul_f16_sdwa v54, v53, v92 dst_sel:DWORD dst_unused:UNUSED_PAD src0_sel:DWORD src1_sel:WORD_1
	v_fmac_f16_e32 v119, v53, v92
	v_fma_f16 v94, v58, v94, -v52
	s_waitcnt lgkmcnt(4)
	v_mul_f16_sdwa v122, v55, v96 dst_sel:DWORD dst_unused:UNUSED_PAD src0_sel:DWORD src1_sel:WORD_1
	v_mul_f16_sdwa v52, v50, v96 dst_sel:DWORD dst_unused:UNUSED_PAD src0_sel:DWORD src1_sel:WORD_1
	v_fma_f16 v95, v110, v95, -v51
	v_add_f16_e32 v51, v44, v101
	v_fmac_f16_e32 v44, -0.5, v49
	v_sub_f16_e32 v49, v6, v7
	v_add_f16_e32 v53, v98, v100
	v_fma_f16 v92, v59, v92, -v54
	v_fmac_f16_e32 v122, v50, v96
	v_fma_f16 v96, v55, v96, -v52
	v_add_f16_e32 v50, v6, v7
	v_fmamk_f16 v52, v49, 0xbaee, v44
	v_fmac_f16_e32 v44, 0x3aee, v49
	v_add_f16_e32 v49, v118, v97
	v_add_f16_e32 v55, v30, v98
	v_fmac_f16_e32 v30, -0.5, v53
	v_add_f16_e32 v53, v102, v103
	v_add_f16_e32 v58, v104, v105
	v_add_f16_e32 v59, v106, v107
	v_add_f16_e32 v62, v108, v112
	s_waitcnt lgkmcnt(0)
	v_add_f16_e32 v6, v117, v6
	v_fmac_f16_e32 v117, -0.5, v50
	v_add_f16_e32 v50, v51, v111
	v_sub_f16_e32 v51, v101, v111
	v_add_f16_e32 v54, v29, v118
	v_fmac_f16_e32 v29, -0.5, v49
	v_sub_f16_e32 v49, v8, v9
	v_sub_f16_e32 v56, v10, v11
	v_add_f16_e32 v57, v28, v102
	v_fmac_f16_e32 v28, -0.5, v53
	v_sub_f16_e32 v53, v12, v13
	v_add_f16_e32 v60, v25, v104
	v_fmac_f16_e32 v25, -0.5, v58
	v_sub_f16_e32 v58, v85, v86
	v_add_f16_e32 v61, v21, v106
	v_fmac_f16_e32 v21, -0.5, v59
	v_sub_f16_e32 v59, v87, v88
	v_add_f16_e32 v63, v113, v119
	v_add_f16_e32 v64, v18, v108
	v_fmac_f16_e32 v18, -0.5, v62
	v_sub_f16_e32 v62, v89, v90
	v_add_f16_e32 v6, v6, v7
	v_fmamk_f16 v7, v51, 0x3aee, v117
	v_fmac_f16_e32 v117, 0xbaee, v51
	v_fmamk_f16 v51, v49, 0xbaee, v29
	v_fmac_f16_e32 v29, 0x3aee, v49
	;; [unrolled: 2-line block ×5, first 2 shown]
	v_fmamk_f16 v58, v59, 0xbaee, v21
	v_add_f16_e32 v65, v27, v113
	v_fmac_f16_e32 v27, -0.5, v63
	v_sub_f16_e32 v63, v91, v92
	v_fmac_f16_e32 v21, 0x3aee, v59
	v_fmamk_f16 v59, v62, 0xbaee, v18
	v_fmac_f16_e32 v18, 0x3aee, v62
	v_add_f16_e32 v62, v116, v120
	v_fmamk_f16 v66, v63, 0xbaee, v27
	v_fmac_f16_e32 v27, 0x3aee, v63
	v_add_f16_e32 v63, v26, v116
	ds_read_u16 v110, v0 offset:270
	ds_read_u16 v123, v0 offset:540
	;; [unrolled: 1-line block ×5, first 2 shown]
	v_fmac_f16_e32 v26, -0.5, v62
	v_mov_b32_e32 v62, 0x12c
	s_waitcnt lgkmcnt(0)
	s_barrier
	buffer_gl0_inv
	v_add_f16_e32 v68, v121, v122
	v_mul_u32_u24_sdwa v45, v45, v62 dst_sel:DWORD dst_unused:UNUSED_PAD src0_sel:WORD_0 src1_sel:DWORD
	v_sub_f16_e32 v70, v93, v94
	v_add_f16_e32 v101, v22, v121
	v_fmac_f16_e32 v22, -0.5, v68
	v_add3_u32 v111, 0, v45, v47
	v_lshlrev_b32_sdwa v45, v42, v69 dst_sel:DWORD dst_unused:UNUSED_PAD src0_sel:DWORD src1_sel:WORD_0
	v_mul_u32_u24_e32 v47, 0x12c, v67
	ds_write_b16 v111, v50
	ds_write_b16 v111, v52 offset:100
	v_add3_u32 v127, 0, v46, v45
	v_add_f16_e32 v45, v54, v97
	v_lshlrev_b32_sdwa v46, v42, v72 dst_sel:DWORD dst_unused:UNUSED_PAD src0_sel:DWORD src1_sel:WORD_0
	ds_write_b16 v111, v44 offset:200
	v_lshlrev_b32_sdwa v44, v42, v71 dst_sel:DWORD dst_unused:UNUSED_PAD src0_sel:DWORD src1_sel:WORD_0
	ds_write_b16 v127, v51 offset:100
	ds_write_b16 v127, v45
	v_add3_u32 v128, 0, v47, v46
	v_add_f16_e32 v45, v55, v100
	v_add3_u32 v129, 0, v48, v44
	v_add_f16_e32 v44, v57, v103
	ds_write_b16 v127, v29 offset:200
	ds_write_b16 v128, v45
	ds_write_b16 v128, v49 offset:100
	ds_write_b16 v128, v30 offset:200
	ds_write_b16 v129, v44
	v_lshlrev_b32_sdwa v29, v42, v76 dst_sel:DWORD dst_unused:UNUSED_PAD src0_sel:DWORD src1_sel:WORD_0
	v_mul_u32_u24_e32 v30, 0x12c, v73
	v_lshlrev_b32_sdwa v44, v42, v77 dst_sel:DWORD dst_unused:UNUSED_PAD src0_sel:DWORD src1_sel:WORD_0
	v_mul_u32_u24_e32 v45, 0x12c, v74
	ds_write_b16 v129, v56 offset:100
	ds_write_b16 v129, v28 offset:200
	v_mul_u32_u24_e32 v46, 0x12c, v75
	v_add3_u32 v28, 0, v30, v29
	v_add_f16_e32 v29, v60, v105
	v_add3_u32 v30, 0, v45, v44
	v_lshlrev_b32_sdwa v45, v42, v79 dst_sel:DWORD dst_unused:UNUSED_PAD src0_sel:DWORD src1_sel:WORD_0
	v_add_f16_e32 v44, v61, v107
	ds_write_b16 v28, v29
	ds_write_b16 v28, v53 offset:100
	ds_write_b16 v28, v25 offset:200
	ds_write_b16 v30, v44
	v_lshlrev_b32_sdwa v44, v42, v82 dst_sel:DWORD dst_unused:UNUSED_PAD src0_sel:DWORD src1_sel:WORD_0
	v_add3_u32 v25, 0, v46, v45
	v_mul_u32_u24_e32 v45, 0x12c, v78
	v_add_f16_e32 v29, v64, v112
	ds_write_b16 v30, v58 offset:100
	ds_write_b16 v30, v21 offset:200
	ds_write_b16 v25, v29
	ds_write_b16 v25, v59 offset:100
	v_add3_u32 v21, 0, v45, v44
	v_add_f16_e32 v29, v65, v119
	v_lshlrev_b32_sdwa v44, v42, v84 dst_sel:DWORD dst_unused:UNUSED_PAD src0_sel:DWORD src1_sel:WORD_0
	v_mul_u32_u24_e32 v45, 0x12c, v80
	v_sub_f16_e32 v68, v95, v96
	ds_write_b16 v25, v18 offset:200
	v_lshlrev_b32_sdwa v18, v42, v83 dst_sel:DWORD dst_unused:UNUSED_PAD src0_sel:DWORD src1_sel:WORD_0
	v_mul_u32_u24_e32 v46, 0x12c, v81
	ds_write_b16 v21, v29
	v_add3_u32 v29, 0, v45, v44
	v_add_f16_e32 v44, v63, v120
	v_fmamk_f16 v62, v70, 0xbaee, v26
	v_fmac_f16_e32 v26, 0x3aee, v70
	v_fmamk_f16 v70, v68, 0xbaee, v22
	v_fmac_f16_e32 v22, 0x3aee, v68
	v_add3_u32 v18, 0, v46, v18
	v_add_f16_e32 v45, v101, v122
	ds_write_b16 v21, v66 offset:100
	ds_write_b16 v21, v27 offset:200
	ds_write_b16 v29, v44
	ds_write_b16 v29, v62 offset:100
	ds_write_b16 v29, v26 offset:200
	ds_write_b16 v18, v45
	ds_write_b16 v18, v70 offset:100
	ds_write_b16 v18, v22 offset:200
	v_add_f16_e32 v22, v8, v9
	v_add_f16_e32 v8, v110, v8
	s_waitcnt lgkmcnt(0)
	s_barrier
	buffer_gl0_inv
	v_fmac_f16_e32 v110, -0.5, v22
	v_sub_f16_e32 v22, v118, v97
	ds_read_u16 v53, v0
	ds_read_u16 v52, v0 offset:270
	ds_read_u16 v51, v0 offset:540
	;; [unrolled: 1-line block ×29, first 2 shown]
	s_waitcnt lgkmcnt(0)
	s_barrier
	buffer_gl0_inv
	ds_write_b16 v111, v6
	ds_write_b16 v111, v7 offset:100
	v_add_f16_e32 v6, v8, v9
	v_add_f16_e32 v8, v10, v11
	v_fmamk_f16 v7, v22, 0x3aee, v110
	ds_write_b16 v111, v117 offset:200
	ds_write_b16 v127, v6
	ds_write_b16 v127, v7 offset:100
	v_add_f16_e32 v6, v123, v10
	v_fmac_f16_e32 v123, -0.5, v8
	v_add_f16_e32 v7, v12, v13
	v_sub_f16_e32 v8, v98, v100
	v_fmac_f16_e32 v110, 0xbaee, v22
	v_add_f16_e32 v9, v124, v12
	v_sub_f16_e32 v10, v102, v103
	v_fmac_f16_e32 v124, -0.5, v7
	v_fmamk_f16 v7, v8, 0x3aee, v123
	v_add_f16_e32 v6, v6, v11
	ds_write_b16 v127, v110 offset:200
	v_fmac_f16_e32 v123, 0xbaee, v8
	v_add_f16_e32 v8, v125, v85
	ds_write_b16 v128, v7 offset:100
	v_fmamk_f16 v7, v10, 0x3aee, v124
	ds_write_b16 v128, v6
	v_add_f16_e32 v6, v9, v13
	v_fmac_f16_e32 v124, 0xbaee, v10
	ds_write_b16 v128, v123 offset:200
	ds_write_b16 v129, v6
	v_add_f16_e32 v6, v85, v86
	ds_write_b16 v129, v7 offset:100
	ds_write_b16 v129, v124 offset:200
	v_add_f16_e32 v7, v87, v88
	v_add_f16_e32 v9, v126, v87
	;; [unrolled: 1-line block ×3, first 2 shown]
	v_fmac_f16_e32 v125, -0.5, v6
	v_sub_f16_e32 v6, v104, v105
	v_fmac_f16_e32 v126, -0.5, v7
	v_sub_f16_e32 v7, v106, v107
	v_add_f16_e32 v13, v115, v91
	v_add_f16_e32 v8, v8, v86
	v_fmamk_f16 v10, v6, 0x3aee, v125
	v_fmac_f16_e32 v125, 0xbaee, v6
	v_add_f16_e32 v6, v9, v88
	v_add_f16_e32 v9, v89, v90
	v_fmamk_f16 v11, v7, 0x3aee, v126
	v_fmac_f16_e32 v126, 0xbaee, v7
	v_add_f16_e32 v7, v91, v92
	v_add_f16_e32 v12, v12, v90
	v_fmac_f16_e32 v99, -0.5, v9
	v_sub_f16_e32 v9, v108, v112
	v_add_f16_e32 v27, v114, v93
	v_fmac_f16_e32 v115, -0.5, v7
	v_sub_f16_e32 v7, v113, v119
	v_add_f16_e32 v74, v109, v95
	v_fmamk_f16 v22, v9, 0x3aee, v99
	v_fmac_f16_e32 v99, 0xbaee, v9
	v_add_f16_e32 v9, v13, v92
	v_add_f16_e32 v13, v93, v94
	v_fmamk_f16 v26, v7, 0x3aee, v115
	v_fmac_f16_e32 v115, 0xbaee, v7
	v_add_f16_e32 v7, v95, v96
	ds_write_b16 v28, v8
	ds_write_b16 v28, v10 offset:100
	ds_write_b16 v28, v125 offset:200
	ds_write_b16 v30, v6
	ds_write_b16 v30, v11 offset:100
	ds_write_b16 v30, v126 offset:200
	;; [unrolled: 3-line block ×3, first 2 shown]
	v_fmac_f16_e32 v114, -0.5, v13
	v_sub_f16_e32 v13, v116, v120
	v_mov_b32_e32 v6, 0
	v_fmac_f16_e32 v109, -0.5, v7
	v_sub_f16_e32 v7, v121, v122
	v_add_f16_e32 v27, v27, v94
	v_fmamk_f16 v75, v13, 0x3aee, v114
	v_fmac_f16_e32 v114, 0xbaee, v13
	v_add_f16_e32 v13, v74, v96
	v_fmamk_f16 v74, v7, 0x3aee, v109
	v_fmac_f16_e32 v109, 0xbaee, v7
	v_lshlrev_b64 v[7:8], 2, v[5:6]
	ds_write_b16 v21, v9
	ds_write_b16 v21, v26 offset:100
	ds_write_b16 v21, v115 offset:200
	ds_write_b16 v29, v27
	v_add_nc_u32_e32 v9, -15, v31
	v_mov_b32_e32 v27, 0xda75
	ds_write_b16 v29, v75 offset:100
	ds_write_b16 v29, v114 offset:200
	ds_write_b16 v18, v13
	ds_write_b16 v18, v74 offset:100
	v_mov_b32_e32 v10, v6
	v_add_co_u32 v7, s0, s12, v7
	v_add_co_ci_u32_e64 v8, s0, s13, v8, s0
	v_cmp_gt_u32_e64 s0, 15, v31
	v_mul_u32_u24_sdwa v13, v14, v27 dst_sel:DWORD dst_unused:UNUSED_PAD src0_sel:WORD_0 src1_sel:DWORD
	v_mul_u32_u24_sdwa v15, v15, v27 dst_sel:DWORD dst_unused:UNUSED_PAD src0_sel:WORD_0 src1_sel:DWORD
	ds_write_b16 v18, v109 offset:200
	s_waitcnt lgkmcnt(0)
	v_cndmask_b32_e64 v9, v9, v37, s0
	v_lshrrev_b32_e32 v74, 22, v13
	s_barrier
	buffer_gl0_inv
	global_load_dwordx2 v[11:12], v[7:8], off offset:560
	v_lshlrev_b32_e32 v9, 1, v9
	v_mul_lo_u16 v18, 0x96, v74
	v_mul_u32_u24_sdwa v20, v20, v27 dst_sel:DWORD dst_unused:UNUSED_PAD src0_sel:WORD_0 src1_sel:DWORD
	v_mul_u32_u24_sdwa v19, v19, v27 dst_sel:DWORD dst_unused:UNUSED_PAD src0_sel:WORD_0 src1_sel:DWORD
	;; [unrolled: 1-line block ×3, first 2 shown]
	v_lshlrev_b64 v[13:14], 2, v[9:10]
	v_lshrrev_b32_e32 v10, 22, v15
	v_mul_u32_u24_sdwa v15, v16, v27 dst_sel:DWORD dst_unused:UNUSED_PAD src0_sel:WORD_0 src1_sel:DWORD
	v_sub_nc_u16 v76, v36, v18
	v_lshrrev_b32_e32 v80, 22, v20
	v_lshrrev_b32_e32 v81, 22, v19
	v_mul_lo_u16 v16, 0x96, v10
	v_lshrrev_b32_e32 v75, 22, v15
	v_add_co_u32 v13, s0, s12, v13
	v_add_co_ci_u32_e64 v14, s0, s13, v14, s0
	v_sub_nc_u16 v77, v32, v16
	v_mul_u32_u24_sdwa v16, v17, v27 dst_sel:DWORD dst_unused:UNUSED_PAD src0_sel:WORD_0 src1_sel:DWORD
	v_mul_lo_u16 v21, 0x96, v75
	global_load_dwordx2 v[13:14], v[13:14], off offset:560
	v_lshlrev_b32_sdwa v15, v43, v76 dst_sel:DWORD dst_unused:UNUSED_PAD src0_sel:DWORD src1_sel:WORD_0
	v_mul_lo_u16 v20, 0x96, v80
	v_lshrrev_b32_e32 v78, 22, v16
	v_sub_nc_u16 v79, v33, v21
	v_lshrrev_b32_e32 v84, 22, v23
	global_load_dwordx2 v[17:18], v15, s[12:13] offset:560
	v_sub_nc_u16 v82, v38, v20
	v_mul_lo_u16 v21, 0x96, v78
	v_lshlrev_b32_sdwa v22, v43, v79 dst_sel:DWORD dst_unused:UNUSED_PAD src0_sel:DWORD src1_sel:WORD_0
	v_mul_u32_u24_sdwa v24, v24, v27 dst_sel:DWORD dst_unused:UNUSED_PAD src0_sel:WORD_0 src1_sel:DWORD
	v_mul_lo_u16 v27, 0x96, v84
	v_lshlrev_b32_sdwa v26, v43, v82 dst_sel:DWORD dst_unused:UNUSED_PAD src0_sel:DWORD src1_sel:WORD_0
	v_sub_nc_u16 v83, v34, v21
	global_load_dwordx2 v[21:22], v22, s[12:13] offset:560
	v_lshrrev_b32_e32 v24, 22, v24
	v_sub_nc_u16 v87, v40, v27
	v_cmp_lt_u32_e64 s0, 14, v31
	v_lshlrev_b32_sdwa v25, v43, v83 dst_sel:DWORD dst_unused:UNUSED_PAD src0_sel:DWORD src1_sel:WORD_0
	v_mul_u32_u24_e32 v74, 0x384, v74
	v_mul_u32_u24_e32 v10, 0x384, v10
	v_lshlrev_b32_e32 v36, 1, v36
	global_load_dwordx2 v[19:20], v25, s[12:13] offset:560
	v_lshlrev_b32_sdwa v15, v43, v77 dst_sel:DWORD dst_unused:UNUSED_PAD src0_sel:DWORD src1_sel:WORD_0
	v_mul_lo_u16 v25, 0x96, v81
	global_load_dwordx2 v[15:16], v15, s[12:13] offset:560
	v_sub_nc_u16 v86, v39, v25
	global_load_dwordx2 v[25:26], v26, s[12:13] offset:560
	v_lshlrev_b32_sdwa v23, v43, v86 dst_sel:DWORD dst_unused:UNUSED_PAD src0_sel:DWORD src1_sel:WORD_0
	global_load_dwordx2 v[29:30], v23, s[12:13] offset:560
	v_mul_lo_u16 v23, 0x96, v24
	v_lshlrev_b32_sdwa v24, v43, v87 dst_sel:DWORD dst_unused:UNUSED_PAD src0_sel:DWORD src1_sel:WORD_0
	v_sub_nc_u16 v23, v41, v23
	global_load_dwordx2 v[27:28], v24, s[12:13] offset:560
	v_and_b32_e32 v85, 0xffff, v23
	v_lshlrev_b32_e32 v23, 3, v85
	global_load_dwordx2 v[23:24], v23, s[12:13] offset:560
	ds_read_u16 v88, v0 offset:2700
	ds_read_u16 v89, v0 offset:5400
	;; [unrolled: 1-line block ×12, first 2 shown]
	s_waitcnt vmcnt(9) lgkmcnt(11)
	v_mul_f16_sdwa v91, v88, v11 dst_sel:DWORD dst_unused:UNUSED_PAD src0_sel:DWORD src1_sel:WORD_1
	v_mul_f16_sdwa v92, v71, v11 dst_sel:DWORD dst_unused:UNUSED_PAD src0_sel:DWORD src1_sel:WORD_1
	s_waitcnt lgkmcnt(10)
	v_mul_f16_sdwa v102, v89, v12 dst_sel:DWORD dst_unused:UNUSED_PAD src0_sel:DWORD src1_sel:WORD_1
	v_fmac_f16_e32 v91, v71, v11
	v_fma_f16 v11, v88, v11, -v92
	ds_read_u16 v88, v0 offset:3510
	v_mul_f16_sdwa v71, v73, v12 dst_sel:DWORD dst_unused:UNUSED_PAD src0_sel:DWORD src1_sel:WORD_1
	v_fmac_f16_e32 v102, v73, v12
	ds_read_u16 v73, v0 offset:3780
	ds_read_u16 v92, v0 offset:4050
	;; [unrolled: 1-line block ×5, first 2 shown]
	v_fma_f16 v12, v89, v12, -v71
	s_waitcnt vmcnt(8) lgkmcnt(14)
	v_mul_f16_sdwa v106, v93, v13 dst_sel:DWORD dst_unused:UNUSED_PAD src0_sel:DWORD src1_sel:WORD_1
	s_waitcnt lgkmcnt(12)
	v_mul_f16_sdwa v71, v95, v14 dst_sel:DWORD dst_unused:UNUSED_PAD src0_sel:DWORD src1_sel:WORD_1
	v_mul_f16_sdwa v107, v70, v13 dst_sel:DWORD dst_unused:UNUSED_PAD src0_sel:DWORD src1_sel:WORD_1
	;; [unrolled: 1-line block ×3, first 2 shown]
	v_fmac_f16_e32 v106, v70, v13
	s_waitcnt vmcnt(7)
	v_mul_f16_sdwa v70, v94, v17 dst_sel:DWORD dst_unused:UNUSED_PAD src0_sel:DWORD src1_sel:WORD_1
	v_fmac_f16_e32 v71, v72, v14
	v_mul_f16_sdwa v72, v69, v17 dst_sel:DWORD dst_unused:UNUSED_PAD src0_sel:DWORD src1_sel:WORD_1
	v_fma_f16 v13, v93, v13, -v107
	v_fma_f16 v14, v95, v14, -v89
	s_waitcnt lgkmcnt(11)
	v_mul_f16_sdwa v89, v96, v18 dst_sel:DWORD dst_unused:UNUSED_PAD src0_sel:DWORD src1_sel:WORD_1
	v_mul_f16_sdwa v93, v67, v18 dst_sel:DWORD dst_unused:UNUSED_PAD src0_sel:DWORD src1_sel:WORD_1
	v_fmac_f16_e32 v70, v69, v17
	v_fma_f16 v69, v94, v17, -v72
	s_waitcnt vmcnt(6) lgkmcnt(4)
	v_mul_f16_sdwa v72, v73, v21 dst_sel:DWORD dst_unused:UNUSED_PAD src0_sel:DWORD src1_sel:WORD_1
	v_fmac_f16_e32 v89, v67, v18
	v_fma_f16 v67, v96, v18, -v93
	v_mul_f16_sdwa v93, v66, v21 dst_sel:DWORD dst_unused:UNUSED_PAD src0_sel:DWORD src1_sel:WORD_1
	v_fmac_f16_e32 v72, v66, v21
	v_mul_f16_sdwa v66, v98, v22 dst_sel:DWORD dst_unused:UNUSED_PAD src0_sel:DWORD src1_sel:WORD_1
	s_waitcnt vmcnt(5) lgkmcnt(3)
	v_mul_f16_sdwa v94, v92, v19 dst_sel:DWORD dst_unused:UNUSED_PAD src0_sel:DWORD src1_sel:WORD_1
	v_fma_f16 v73, v73, v21, -v93
	v_add_f16_e32 v21, v51, v70
	v_fmac_f16_e32 v66, v63, v22
	v_fmac_f16_e32 v94, v64, v19
	s_waitcnt vmcnt(4)
	v_mul_f16_sdwa v95, v88, v15 dst_sel:DWORD dst_unused:UNUSED_PAD src0_sel:DWORD src1_sel:WORD_1
	v_mul_f16_sdwa v17, v68, v15 dst_sel:DWORD dst_unused:UNUSED_PAD src0_sel:DWORD src1_sel:WORD_1
	;; [unrolled: 1-line block ×3, first 2 shown]
	s_waitcnt vmcnt(3) lgkmcnt(2)
	v_mul_f16_sdwa v93, v103, v25 dst_sel:DWORD dst_unused:UNUSED_PAD src0_sel:DWORD src1_sel:WORD_1
	v_mul_f16_sdwa v96, v100, v26 dst_sel:DWORD dst_unused:UNUSED_PAD src0_sel:DWORD src1_sel:WORD_1
	v_fmac_f16_e32 v95, v68, v15
	v_fma_f16 v88, v88, v15, -v17
	v_mul_f16_sdwa v15, v63, v22 dst_sel:DWORD dst_unused:UNUSED_PAD src0_sel:DWORD src1_sel:WORD_1
	v_mul_f16_sdwa v68, v97, v16 dst_sel:DWORD dst_unused:UNUSED_PAD src0_sel:DWORD src1_sel:WORD_1
	v_mul_f16_sdwa v17, v62, v25 dst_sel:DWORD dst_unused:UNUSED_PAD src0_sel:DWORD src1_sel:WORD_1
	v_fmac_f16_e32 v93, v62, v25
	v_fmac_f16_e32 v96, v60, v26
	v_fma_f16 v63, v98, v22, -v15
	ds_read_u16 v15, v0 offset:7290
	v_fmac_f16_e32 v68, v65, v16
	v_fma_f16 v65, v97, v16, -v18
	v_mul_f16_sdwa v16, v64, v19 dst_sel:DWORD dst_unused:UNUSED_PAD src0_sel:DWORD src1_sel:WORD_1
	v_fma_f16 v62, v103, v25, -v17
	v_mul_f16_sdwa v17, v60, v26 dst_sel:DWORD dst_unused:UNUSED_PAD src0_sel:DWORD src1_sel:WORD_1
	s_waitcnt vmcnt(2) lgkmcnt(2)
	v_mul_f16_sdwa v60, v104, v29 dst_sel:DWORD dst_unused:UNUSED_PAD src0_sel:DWORD src1_sel:WORD_1
	v_mul_f16_sdwa v18, v57, v29 dst_sel:DWORD dst_unused:UNUSED_PAD src0_sel:DWORD src1_sel:WORD_1
	v_fma_f16 v64, v92, v19, -v16
	v_mul_f16_sdwa v92, v99, v20 dst_sel:DWORD dst_unused:UNUSED_PAD src0_sel:DWORD src1_sel:WORD_1
	v_mul_f16_sdwa v16, v61, v20 dst_sel:DWORD dst_unused:UNUSED_PAD src0_sel:DWORD src1_sel:WORD_1
	v_fma_f16 v100, v100, v26, -v17
	v_fmac_f16_e32 v60, v57, v29
	v_mul_f16_sdwa v17, v59, v30 dst_sel:DWORD dst_unused:UNUSED_PAD src0_sel:DWORD src1_sel:WORD_1
	v_fmac_f16_e32 v92, v61, v20
	v_fma_f16 v61, v99, v20, -v16
	ds_read_u16 v16, v0 offset:7560
	v_fma_f16 v57, v104, v29, -v18
	s_waitcnt vmcnt(1)
	v_mul_f16_sdwa v18, v56, v27 dst_sel:DWORD dst_unused:UNUSED_PAD src0_sel:DWORD src1_sel:WORD_1
	ds_read_u16 v19, v0 offset:7830
	ds_read_u16 v97, v35 offset:2430
	;; [unrolled: 1-line block ×4, first 2 shown]
	s_waitcnt lgkmcnt(5)
	v_mul_f16_sdwa v103, v15, v30 dst_sel:DWORD dst_unused:UNUSED_PAD src0_sel:DWORD src1_sel:WORD_1
	v_fma_f16 v104, v15, v30, -v17
	v_mul_f16_sdwa v15, v55, v28 dst_sel:DWORD dst_unused:UNUSED_PAD src0_sel:DWORD src1_sel:WORD_1
	s_waitcnt vmcnt(0)
	v_mul_f16_sdwa v108, v101, v23 dst_sel:DWORD dst_unused:UNUSED_PAD src0_sel:DWORD src1_sel:WORD_1
	v_cndmask_b32_e64 v17, 0, 0x384, s0
	v_fmac_f16_e32 v103, v59, v30
	v_mul_f16_sdwa v59, v105, v27 dst_sel:DWORD dst_unused:UNUSED_PAD src0_sel:DWORD src1_sel:WORD_1
	ds_read_u16 v111, v0 offset:270
	v_fmac_f16_e32 v108, v54, v23
	v_add3_u32 v9, 0, v17, v9
	v_add_f16_e32 v17, v53, v91
	v_fmac_f16_e32 v59, v56, v27
	v_fma_f16 v56, v105, v27, -v18
	ds_read_u16 v105, v0
	v_add_f16_e32 v20, v95, v68
	v_add_f16_e32 v22, v47, v95
	s_waitcnt lgkmcnt(6)
	v_fma_f16 v109, v16, v28, -v15
	v_mul_f16_sdwa v15, v54, v23 dst_sel:DWORD dst_unused:UNUSED_PAD src0_sel:DWORD src1_sel:WORD_1
	v_mul_f16_sdwa v107, v16, v28 dst_sel:DWORD dst_unused:UNUSED_PAD src0_sel:DWORD src1_sel:WORD_1
	s_waitcnt lgkmcnt(5)
	v_mul_f16_sdwa v110, v19, v24 dst_sel:DWORD dst_unused:UNUSED_PAD src0_sel:DWORD src1_sel:WORD_1
	v_mul_f16_sdwa v16, v58, v24 dst_sel:DWORD dst_unused:UNUSED_PAD src0_sel:DWORD src1_sel:WORD_1
	v_fmac_f16_e32 v47, -0.5, v20
	v_fma_f16 v101, v101, v23, -v15
	v_add_f16_e32 v15, v91, v102
	v_fmac_f16_e32 v110, v58, v24
	v_fma_f16 v58, v19, v24, -v16
	v_add_f16_e32 v16, v11, v12
	v_add_f16_e32 v23, v72, v66
	v_fmac_f16_e32 v53, -0.5, v15
	v_sub_f16_e32 v15, v11, v12
	v_fmac_f16_e32 v107, v55, v28
	v_sub_f16_e32 v20, v88, v65
	v_add_f16_e32 v24, v94, v92
	s_waitcnt lgkmcnt(0)
	v_add_f16_e32 v11, v105, v11
	v_fmac_f16_e32 v105, -0.5, v16
	v_add_f16_e32 v16, v17, v102
	v_sub_f16_e32 v17, v91, v102
	v_fmamk_f16 v18, v15, 0xbaee, v53
	v_add_f16_e32 v11, v11, v12
	v_add_f16_e32 v12, v106, v71
	v_fmac_f16_e32 v53, 0x3aee, v15
	v_fmamk_f16 v91, v17, 0x3aee, v105
	v_fmac_f16_e32 v105, 0xbaee, v17
	v_add_f16_e32 v17, v52, v106
	v_fmac_f16_e32 v52, -0.5, v12
	v_sub_f16_e32 v12, v13, v14
	v_add_f16_e32 v15, v13, v14
	v_add_f16_e32 v13, v111, v13
	;; [unrolled: 1-line block ×3, first 2 shown]
	v_fmac_f16_e32 v48, -0.5, v23
	v_fmamk_f16 v19, v12, 0xbaee, v52
	v_fmac_f16_e32 v52, 0x3aee, v12
	v_add_f16_e32 v12, v70, v89
	v_fmac_f16_e32 v111, -0.5, v15
	v_add_f16_e32 v15, v17, v71
	v_sub_f16_e32 v17, v106, v71
	v_sub_f16_e32 v23, v73, v63
	v_fmac_f16_e32 v51, -0.5, v12
	v_sub_f16_e32 v12, v69, v67
	v_add_f16_e32 v13, v13, v14
	v_fmamk_f16 v14, v17, 0x3aee, v111
	v_fmac_f16_e32 v111, 0xbaee, v17
	v_add_f16_e32 v26, v46, v94
	v_fmamk_f16 v17, v12, 0xbaee, v51
	v_fmac_f16_e32 v51, 0x3aee, v12
	v_fmamk_f16 v12, v20, 0xbaee, v47
	v_fmac_f16_e32 v46, -0.5, v24
	v_sub_f16_e32 v24, v64, v61
	v_fmac_f16_e32 v47, 0x3aee, v20
	v_fmamk_f16 v20, v23, 0xbaee, v48
	v_fmac_f16_e32 v48, 0x3aee, v23
	v_add_f16_e32 v23, v93, v96
	v_add_f16_e32 v29, v59, v107
	v_fmamk_f16 v27, v24, 0xbaee, v46
	v_fmac_f16_e32 v46, 0x3aee, v24
	v_add_f16_e32 v24, v44, v93
	v_add_f16_e32 v28, v60, v103
	v_fmac_f16_e32 v44, -0.5, v23
	v_sub_f16_e32 v23, v62, v100
	v_add_f16_e32 v54, v49, v59
	v_fmac_f16_e32 v49, -0.5, v29
	v_add_f16_e32 v29, v108, v110
	v_add_f16_e32 v30, v50, v60
	v_fmac_f16_e32 v50, -0.5, v28
	v_sub_f16_e32 v28, v57, v104
	v_sub_f16_e32 v55, v56, v109
	v_fmamk_f16 v71, v23, 0xbaee, v44
	v_fmac_f16_e32 v44, 0x3aee, v23
	v_add_f16_e32 v23, v45, v108
	v_fmac_f16_e32 v45, -0.5, v29
	v_sub_f16_e32 v29, v101, v58
	v_fmamk_f16 v102, v28, 0xbaee, v50
	v_fmac_f16_e32 v50, 0x3aee, v28
	v_fmamk_f16 v28, v55, 0xbaee, v49
	v_fmac_f16_e32 v49, 0x3aee, v55
	;; [unrolled: 2-line block ×3, first 2 shown]
	v_lshlrev_b32_sdwa v29, v42, v76 dst_sel:DWORD dst_unused:UNUSED_PAD src0_sel:DWORD src1_sel:WORD_0
	ds_read_u16 v112, v0 offset:540
	ds_read_u16 v113, v0 offset:810
	;; [unrolled: 1-line block ×4, first 2 shown]
	s_waitcnt lgkmcnt(0)
	s_barrier
	buffer_gl0_inv
	ds_write_b16 v0, v16
	ds_write_b16 v0, v18 offset:300
	ds_write_b16 v0, v53 offset:600
	ds_write_b16 v9, v15
	v_lshlrev_b32_sdwa v16, v42, v77 dst_sel:DWORD dst_unused:UNUSED_PAD src0_sel:DWORD src1_sel:WORD_0
	v_add3_u32 v74, 0, v74, v29
	v_add_f16_e32 v15, v21, v89
	ds_write_b16 v9, v19 offset:300
	ds_write_b16 v9, v52 offset:600
	ds_write_b16 v74, v15
	ds_write_b16 v74, v17 offset:300
	v_add3_u32 v10, 0, v10, v16
	v_add_f16_e32 v15, v22, v68
	v_lshlrev_b32_sdwa v16, v42, v79 dst_sel:DWORD dst_unused:UNUSED_PAD src0_sel:DWORD src1_sel:WORD_0
	v_mul_u32_u24_e32 v17, 0x384, v75
	v_lshlrev_b32_sdwa v18, v42, v83 dst_sel:DWORD dst_unused:UNUSED_PAD src0_sel:DWORD src1_sel:WORD_0
	v_mul_u32_u24_e32 v19, 0x384, v78
	ds_write_b16 v74, v51 offset:600
	ds_write_b16 v10, v15
	v_add3_u32 v75, 0, v17, v16
	v_add_f16_e32 v15, v25, v66
	ds_write_b16 v10, v12 offset:300
	v_add3_u32 v12, 0, v19, v18
	v_add_f16_e32 v16, v26, v92
	ds_write_b16 v10, v47 offset:600
	ds_write_b16 v75, v15
	ds_write_b16 v75, v20 offset:300
	ds_write_b16 v75, v48 offset:600
	ds_write_b16 v12, v16
	v_lshlrev_b32_sdwa v15, v42, v82 dst_sel:DWORD dst_unused:UNUSED_PAD src0_sel:DWORD src1_sel:WORD_0
	v_mul_u32_u24_e32 v16, 0x384, v80
	v_lshlrev_b32_sdwa v17, v42, v86 dst_sel:DWORD dst_unused:UNUSED_PAD src0_sel:DWORD src1_sel:WORD_0
	v_mul_u32_u24_e32 v18, 0x384, v81
	ds_write_b16 v12, v27 offset:300
	ds_write_b16 v12, v46 offset:600
	v_lshl_add_u32 v77, v85, 1, 0
	v_add3_u32 v47, 0, v16, v15
	v_add_f16_e32 v15, v24, v96
	v_add3_u32 v76, 0, v18, v17
	v_lshlrev_b32_sdwa v17, v42, v87 dst_sel:DWORD dst_unused:UNUSED_PAD src0_sel:DWORD src1_sel:WORD_0
	v_mul_u32_u24_e32 v18, 0x384, v84
	v_add_f16_e32 v16, v30, v103
	ds_write_b16 v47, v15
	ds_write_b16 v47, v71 offset:300
	ds_write_b16 v47, v44 offset:600
	ds_write_b16 v76, v16
	v_add_f16_e32 v15, v54, v107
	v_add3_u32 v71, 0, v18, v17
	v_add_f16_e32 v16, v23, v110
	ds_write_b16 v76, v102 offset:300
	ds_write_b16 v76, v50 offset:600
	ds_write_b16 v71, v15
	ds_write_b16 v71, v28 offset:300
	ds_write_b16 v71, v49 offset:600
	;; [unrolled: 1-line block ×5, first 2 shown]
	s_waitcnt lgkmcnt(0)
	s_barrier
	buffer_gl0_inv
	ds_read_u16 v20, v0
	ds_read_u16 v21, v0 offset:270
	ds_read_u16 v22, v0 offset:540
	;; [unrolled: 1-line block ×29, first 2 shown]
	s_waitcnt lgkmcnt(0)
	s_barrier
	buffer_gl0_inv
	ds_write_b16 v0, v11
	v_add_f16_e32 v11, v69, v67
	ds_write_b16 v0, v91 offset:300
	ds_write_b16 v0, v105 offset:600
	v_add_f16_e32 v69, v112, v69
	ds_write_b16 v9, v13
	ds_write_b16 v9, v14 offset:300
	v_fmac_f16_e32 v112, -0.5, v11
	v_sub_f16_e32 v11, v70, v89
	ds_write_b16 v9, v111 offset:600
	v_add_f16_e32 v9, v88, v65
	v_add_f16_e32 v13, v69, v67
	v_sub_f16_e32 v59, v59, v107
	v_fmamk_f16 v14, v11, 0x3aee, v112
	v_fmac_f16_e32 v112, 0xbaee, v11
	v_add_f16_e32 v11, v113, v88
	v_fmac_f16_e32 v113, -0.5, v9
	v_sub_f16_e32 v9, v95, v68
	ds_write_b16 v74, v13
	ds_write_b16 v74, v14 offset:300
	ds_write_b16 v74, v112 offset:600
	v_add_f16_e32 v13, v73, v63
	v_add_f16_e32 v11, v11, v65
	v_fmamk_f16 v14, v9, 0x3aee, v113
	v_fmac_f16_e32 v113, 0xbaee, v9
	v_add_f16_e32 v9, v64, v61
	v_add_f16_e32 v65, v114, v73
	v_fmac_f16_e32 v114, -0.5, v13
	v_sub_f16_e32 v13, v72, v66
	v_add_f16_e32 v64, v115, v64
	v_fmac_f16_e32 v115, -0.5, v9
	v_sub_f16_e32 v9, v94, v92
	v_add_f16_e32 v63, v65, v63
	v_fmamk_f16 v65, v13, 0x3aee, v114
	v_fmac_f16_e32 v114, 0xbaee, v13
	v_add_f16_e32 v13, v64, v61
	v_add_f16_e32 v61, v62, v100
	v_fmamk_f16 v64, v9, 0x3aee, v115
	v_fmac_f16_e32 v115, 0xbaee, v9
	v_add_f16_e32 v9, v57, v104
	v_add_f16_e32 v62, v90, v62
	v_fmac_f16_e32 v90, -0.5, v61
	v_sub_f16_e32 v61, v93, v96
	v_add_f16_e32 v57, v99, v57
	v_fmac_f16_e32 v99, -0.5, v9
	v_sub_f16_e32 v9, v60, v103
	v_add_f16_e32 v60, v62, v100
	v_fmamk_f16 v62, v61, 0x3aee, v90
	v_fmac_f16_e32 v90, 0xbaee, v61
	v_add_f16_e32 v61, v56, v109
	v_fmamk_f16 v66, v9, 0x3aee, v99
	v_fmac_f16_e32 v99, 0xbaee, v9
	v_add_f16_e32 v9, v101, v58
	v_add_f16_e32 v56, v98, v56
	v_fmac_f16_e32 v98, -0.5, v61
	v_add_f16_e32 v61, v97, v101
	v_add_f16_e32 v57, v57, v104
	v_fmac_f16_e32 v97, -0.5, v9
	v_sub_f16_e32 v9, v108, v110
	v_add_f16_e32 v56, v56, v109
	v_fmamk_f16 v67, v59, 0x3aee, v98
	v_fmac_f16_e32 v98, 0xbaee, v59
	v_add_f16_e32 v58, v61, v58
	v_fmamk_f16 v59, v9, 0x3aee, v97
	v_fmac_f16_e32 v97, 0xbaee, v9
	ds_write_b16 v10, v11
	ds_write_b16 v10, v14 offset:300
	ds_write_b16 v10, v113 offset:600
	ds_write_b16 v75, v63
	ds_write_b16 v75, v65 offset:300
	ds_write_b16 v75, v114 offset:600
	;; [unrolled: 3-line block ×6, first 2 shown]
	ds_write_b16 v77, v58 offset:7200
	ds_write_b16 v77, v59 offset:7500
	;; [unrolled: 1-line block ×3, first 2 shown]
	v_lshlrev_b32_e32 v9, 1, v37
	v_mov_b32_e32 v10, v6
	v_subrev_nc_u32_e32 v11, 45, v31
	v_cmp_gt_u32_e64 s0, 45, v31
	v_mov_b32_e32 v37, v6
	v_mov_b32_e32 v14, v6
	v_lshlrev_b64 v[9:10], 2, v[9:10]
	v_add_nc_u32_e32 v60, 0xb4, v5
	v_cndmask_b32_e64 v13, v11, v32, s0
	v_mov_b32_e32 v61, v6
	s_waitcnt lgkmcnt(0)
	s_barrier
	v_add_co_u32 v11, s0, s12, v9
	v_lshlrev_b32_e32 v13, 1, v13
	v_add_co_ci_u32_e64 v12, s0, s13, v10, s0
	v_lshlrev_b64 v[9:10], 2, v[36:37]
	buffer_gl0_inv
	v_lshlrev_b64 v[36:37], 2, v[13:14]
	s_clause 0x1
	global_load_dwordx2 v[56:57], v[7:8], off offset:1760
	global_load_dwordx2 v[58:59], v[11:12], off offset:1760
	v_lshlrev_b64 v[60:61], 2, v[60:61]
	v_add_co_u32 v9, s0, s12, v9
	v_add_co_ci_u32_e64 v10, s0, s13, v10, s0
	v_add_co_u32 v36, s0, s12, v36
	v_mov_b32_e32 v68, 0x91a3
	v_add_co_ci_u32_e64 v37, s0, s13, v37, s0
	v_add_nc_u32_e32 v5, 0x1c2, v5
	s_clause 0x1
	global_load_dwordx2 v[62:63], v[9:10], off offset:1760
	global_load_dwordx2 v[64:65], v[36:37], off offset:1760
	v_mul_u32_u24_sdwa v14, v38, v68 dst_sel:DWORD dst_unused:UNUSED_PAD src0_sel:WORD_0 src1_sel:DWORD
	v_add_co_u32 v36, s0, s12, v60
	v_add_co_ci_u32_e64 v37, s0, s13, v61, s0
	v_lshlrev_b64 v[60:61], 2, v[5:6]
	v_mul_u32_u24_sdwa v47, v39, v68 dst_sel:DWORD dst_unused:UNUSED_PAD src0_sel:WORD_0 src1_sel:DWORD
	v_lshrrev_b32_e32 v14, 24, v14
	global_load_dwordx2 v[66:67], v[36:37], off offset:1760
	v_add_co_u32 v36, s0, s12, v60
	v_lshrrev_b32_e32 v5, 24, v47
	v_mul_lo_u16 v47, 0x1c2, v14
	v_add_co_ci_u32_e64 v37, s0, s13, v61, s0
	v_cmp_lt_u32_e64 s0, 44, v31
	v_mul_lo_u16 v5, 0x1c2, v5
	v_sub_nc_u16 v47, v38, v47
	global_load_dwordx2 v[60:61], v[36:37], off offset:1760
	v_mul_u32_u24_sdwa v36, v40, v68 dst_sel:DWORD dst_unused:UNUSED_PAD src0_sel:WORD_0 src1_sel:DWORD
	v_mul_u32_u24_e32 v14, 0xa8c, v14
	v_sub_nc_u16 v5, v39, v5
	v_lshlrev_b32_sdwa v37, v43, v47 dst_sel:DWORD dst_unused:UNUSED_PAD src0_sel:DWORD src1_sel:WORD_0
	v_lshrrev_b32_e32 v43, 24, v36
	v_and_b32_e32 v36, 0xffff, v5
	v_mul_u32_u24_sdwa v5, v41, v68 dst_sel:DWORD dst_unused:UNUSED_PAD src0_sel:WORD_0 src1_sel:DWORD
	global_load_dwordx2 v[68:69], v37, s[12:13] offset:1760
	v_mul_lo_u16 v37, 0x1c2, v43
	v_lshlrev_b32_e32 v43, 3, v36
	v_lshrrev_b32_e32 v5, 24, v5
	v_sub_nc_u16 v37, v40, v37
	global_load_dwordx2 v[70:71], v43, s[12:13] offset:1760
	v_mul_lo_u16 v5, 0x1c2, v5
	v_and_b32_e32 v43, 0xffff, v37
	v_sub_nc_u16 v5, v41, v5
	v_lshlrev_b32_e32 v72, 3, v43
	v_and_b32_e32 v37, 0xffff, v5
	global_load_dwordx2 v[72:73], v72, s[12:13] offset:1760
	v_lshlrev_b32_e32 v5, 3, v37
	global_load_dwordx2 v[74:75], v5, s[12:13] offset:1760
	ds_read_u16 v76, v0 offset:2700
	ds_read_u16 v77, v0 offset:5400
	;; [unrolled: 1-line block ×12, first 2 shown]
	s_waitcnt vmcnt(9) lgkmcnt(11)
	v_mul_f16_sdwa v88, v76, v56 dst_sel:DWORD dst_unused:UNUSED_PAD src0_sel:DWORD src1_sel:WORD_1
	v_mul_f16_sdwa v89, v78, v56 dst_sel:DWORD dst_unused:UNUSED_PAD src0_sel:DWORD src1_sel:WORD_1
	s_waitcnt lgkmcnt(10)
	v_mul_f16_sdwa v91, v77, v57 dst_sel:DWORD dst_unused:UNUSED_PAD src0_sel:DWORD src1_sel:WORD_1
	v_mul_f16_sdwa v93, v80, v57 dst_sel:DWORD dst_unused:UNUSED_PAD src0_sel:DWORD src1_sel:WORD_1
	s_waitcnt vmcnt(8) lgkmcnt(9)
	v_mul_f16_sdwa v96, v81, v58 dst_sel:DWORD dst_unused:UNUSED_PAD src0_sel:DWORD src1_sel:WORD_1
	v_fmac_f16_e32 v88, v78, v56
	v_fma_f16 v76, v76, v56, -v89
	v_fmac_f16_e32 v91, v80, v57
	ds_read_u16 v56, v0 offset:3510
	ds_read_u16 v78, v0 offset:3780
	ds_read_u16 v80, v0 offset:4050
	ds_read_u16 v89, v0 offset:4320
	ds_read_u16 v94, v0 offset:4590
	ds_read_u16 v95, v0 offset:4860
	v_mul_f16_sdwa v97, v55, v58 dst_sel:DWORD dst_unused:UNUSED_PAD src0_sel:DWORD src1_sel:WORD_1
	s_waitcnt lgkmcnt(13)
	v_mul_f16_sdwa v98, v82, v59 dst_sel:DWORD dst_unused:UNUSED_PAD src0_sel:DWORD src1_sel:WORD_1
	v_fma_f16 v77, v77, v57, -v93
	v_mul_f16_sdwa v57, v79, v59 dst_sel:DWORD dst_unused:UNUSED_PAD src0_sel:DWORD src1_sel:WORD_1
	v_fmac_f16_e32 v96, v55, v58
	v_fma_f16 v81, v81, v58, -v97
	v_fmac_f16_e32 v98, v79, v59
	s_waitcnt vmcnt(7) lgkmcnt(6)
	v_mul_f16_sdwa v79, v92, v62 dst_sel:DWORD dst_unused:UNUSED_PAD src0_sel:DWORD src1_sel:WORD_1
	v_mul_f16_sdwa v93, v83, v63 dst_sel:DWORD dst_unused:UNUSED_PAD src0_sel:DWORD src1_sel:WORD_1
	;; [unrolled: 1-line block ×3, first 2 shown]
	v_fma_f16 v82, v82, v59, -v57
	v_mul_f16_sdwa v57, v54, v62 dst_sel:DWORD dst_unused:UNUSED_PAD src0_sel:DWORD src1_sel:WORD_1
	v_fmac_f16_e32 v79, v54, v62
	v_fmac_f16_e32 v93, v52, v63
	s_waitcnt vmcnt(6) lgkmcnt(5)
	v_mul_f16_sdwa v55, v56, v64 dst_sel:DWORD dst_unused:UNUSED_PAD src0_sel:DWORD src1_sel:WORD_1
	v_fma_f16 v63, v83, v63, -v58
	v_mul_f16_sdwa v52, v53, v64 dst_sel:DWORD dst_unused:UNUSED_PAD src0_sel:DWORD src1_sel:WORD_1
	v_mul_f16_sdwa v83, v84, v65 dst_sel:DWORD dst_unused:UNUSED_PAD src0_sel:DWORD src1_sel:WORD_1
	v_mul_f16_sdwa v54, v50, v65 dst_sel:DWORD dst_unused:UNUSED_PAD src0_sel:DWORD src1_sel:WORD_1
	v_fmac_f16_e32 v55, v53, v64
	s_waitcnt vmcnt(5) lgkmcnt(4)
	v_mul_f16_sdwa v53, v78, v66 dst_sel:DWORD dst_unused:UNUSED_PAD src0_sel:DWORD src1_sel:WORD_1
	v_fma_f16 v62, v92, v62, -v57
	v_mul_f16_sdwa v57, v51, v66 dst_sel:DWORD dst_unused:UNUSED_PAD src0_sel:DWORD src1_sel:WORD_1
	v_fmac_f16_e32 v83, v50, v65
	v_fma_f16 v65, v84, v65, -v54
	v_fmac_f16_e32 v53, v51, v66
	s_waitcnt vmcnt(4) lgkmcnt(3)
	v_mul_f16_sdwa v51, v80, v60 dst_sel:DWORD dst_unused:UNUSED_PAD src0_sel:DWORD src1_sel:WORD_1
	v_mul_f16_sdwa v54, v49, v60 dst_sel:DWORD dst_unused:UNUSED_PAD src0_sel:DWORD src1_sel:WORD_1
	v_fma_f16 v64, v56, v64, -v52
	v_mul_f16_sdwa v52, v86, v61 dst_sel:DWORD dst_unused:UNUSED_PAD src0_sel:DWORD src1_sel:WORD_1
	v_fma_f16 v59, v78, v66, -v57
	ds_read_u16 v66, v0 offset:7290
	v_fmac_f16_e32 v51, v49, v60
	v_fma_f16 v56, v80, v60, -v54
	ds_read_u16 v60, v0 offset:7560
	v_mul_f16_sdwa v57, v85, v67 dst_sel:DWORD dst_unused:UNUSED_PAD src0_sel:DWORD src1_sel:WORD_1
	v_fmac_f16_e32 v52, v45, v61
	v_mul_f16_sdwa v45, v45, v61 dst_sel:DWORD dst_unused:UNUSED_PAD src0_sel:DWORD src1_sel:WORD_1
	s_waitcnt vmcnt(3) lgkmcnt(4)
	v_mul_f16_sdwa v49, v89, v68 dst_sel:DWORD dst_unused:UNUSED_PAD src0_sel:DWORD src1_sel:WORD_1
	v_mul_f16_sdwa v50, v48, v67 dst_sel:DWORD dst_unused:UNUSED_PAD src0_sel:DWORD src1_sel:WORD_1
	v_fmac_f16_e32 v57, v48, v67
	v_mul_f16_sdwa v48, v46, v68 dst_sel:DWORD dst_unused:UNUSED_PAD src0_sel:DWORD src1_sel:WORD_1
	v_fma_f16 v58, v86, v61, -v45
	v_fmac_f16_e32 v49, v46, v68
	ds_read_u16 v78, v0 offset:7830
	ds_read_u16 v45, v35 offset:2430
	;; [unrolled: 1-line block ×4, first 2 shown]
	v_fma_f16 v67, v85, v67, -v50
	v_mul_f16_sdwa v50, v87, v69 dst_sel:DWORD dst_unused:UNUSED_PAD src0_sel:DWORD src1_sel:WORD_1
	v_mul_f16_sdwa v61, v27, v69 dst_sel:DWORD dst_unused:UNUSED_PAD src0_sel:DWORD src1_sel:WORD_1
	v_fma_f16 v54, v89, v68, -v48
	s_waitcnt vmcnt(2) lgkmcnt(7)
	v_mul_f16_sdwa v48, v94, v70 dst_sel:DWORD dst_unused:UNUSED_PAD src0_sel:DWORD src1_sel:WORD_1
	v_mul_f16_sdwa v68, v30, v70 dst_sel:DWORD dst_unused:UNUSED_PAD src0_sel:DWORD src1_sel:WORD_1
	v_fmac_f16_e32 v50, v27, v69
	v_fma_f16 v27, v87, v69, -v61
	s_waitcnt lgkmcnt(5)
	v_mul_f16_sdwa v84, v66, v71 dst_sel:DWORD dst_unused:UNUSED_PAD src0_sel:DWORD src1_sel:WORD_1
	v_fmac_f16_e32 v48, v30, v70
	v_fma_f16 v30, v94, v70, -v68
	v_add_f16_e32 v86, v21, v96
	s_waitcnt vmcnt(1)
	v_mul_f16_sdwa v61, v95, v72 dst_sel:DWORD dst_unused:UNUSED_PAD src0_sel:DWORD src1_sel:WORD_1
	v_mul_f16_sdwa v68, v28, v72 dst_sel:DWORD dst_unused:UNUSED_PAD src0_sel:DWORD src1_sel:WORD_1
	s_waitcnt lgkmcnt(4)
	v_mul_f16_sdwa v69, v60, v73 dst_sel:DWORD dst_unused:UNUSED_PAD src0_sel:DWORD src1_sel:WORD_1
	v_mul_f16_sdwa v70, v29, v73 dst_sel:DWORD dst_unused:UNUSED_PAD src0_sel:DWORD src1_sel:WORD_1
	v_fmac_f16_e32 v84, v44, v71
	v_fmac_f16_e32 v61, v28, v72
	v_fma_f16 v28, v95, v72, -v68
	ds_read_u16 v68, v0
	v_mul_f16_sdwa v44, v44, v71 dst_sel:DWORD dst_unused:UNUSED_PAD src0_sel:DWORD src1_sel:WORD_1
	v_fmac_f16_e32 v69, v29, v73
	s_waitcnt vmcnt(0)
	v_mul_f16_sdwa v29, v90, v74 dst_sel:DWORD dst_unused:UNUSED_PAD src0_sel:DWORD src1_sel:WORD_1
	v_fma_f16 v60, v60, v73, -v70
	s_waitcnt lgkmcnt(4)
	v_mul_f16_sdwa v70, v78, v75 dst_sel:DWORD dst_unused:UNUSED_PAD src0_sel:DWORD src1_sel:WORD_1
	v_fma_f16 v44, v66, v71, -v44
	v_mul_f16_sdwa v66, v26, v74 dst_sel:DWORD dst_unused:UNUSED_PAD src0_sel:DWORD src1_sel:WORD_1
	v_fmac_f16_e32 v29, v26, v74
	v_mul_f16_sdwa v26, v25, v75 dst_sel:DWORD dst_unused:UNUSED_PAD src0_sel:DWORD src1_sel:WORD_1
	v_cndmask_b32_e64 v71, 0, 0xa8c, s0
	v_fmac_f16_e32 v70, v25, v75
	v_add_f16_e32 v25, v88, v91
	v_fma_f16 v66, v90, v74, -v66
	v_fma_f16 v26, v78, v75, -v26
	ds_read_u16 v72, v0 offset:270
	ds_read_u16 v73, v0 offset:540
	;; [unrolled: 1-line block ×5, first 2 shown]
	v_add3_u32 v71, 0, v71, v13
	v_lshlrev_b32_sdwa v13, v42, v47 dst_sel:DWORD dst_unused:UNUSED_PAD src0_sel:DWORD src1_sel:WORD_0
	v_add_f16_e32 v42, v20, v88
	v_fmac_f16_e32 v20, -0.5, v25
	v_add_f16_e32 v25, v76, v77
	v_sub_f16_e32 v47, v76, v77
	s_waitcnt lgkmcnt(5)
	v_add_f16_e32 v76, v68, v76
	v_add_f16_e32 v89, v17, v55
	s_waitcnt lgkmcnt(0)
	v_fmac_f16_e32 v68, -0.5, v25
	v_add_f16_e32 v25, v42, v91
	v_sub_f16_e32 v42, v88, v91
	v_fmamk_f16 v85, v47, 0xbaee, v20
	v_fmac_f16_e32 v20, 0x3aee, v47
	v_add_f16_e32 v47, v96, v98
	v_add_f16_e32 v76, v76, v77
	v_fmamk_f16 v77, v42, 0x3aee, v68
	v_fmac_f16_e32 v68, 0xbaee, v42
	v_add_f16_e32 v42, v81, v82
	v_fmac_f16_e32 v21, -0.5, v47
	v_sub_f16_e32 v47, v81, v82
	v_add_f16_e32 v81, v72, v81
	v_add_f16_e32 v88, v22, v79
	v_fmac_f16_e32 v72, -0.5, v42
	v_add_f16_e32 v42, v86, v98
	v_sub_f16_e32 v86, v96, v98
	v_fmamk_f16 v87, v47, 0xbaee, v21
	v_fmac_f16_e32 v21, 0x3aee, v47
	v_add_f16_e32 v47, v79, v93
	v_add_f16_e32 v81, v81, v82
	v_fmamk_f16 v82, v86, 0x3aee, v72
	v_fmac_f16_e32 v72, 0xbaee, v86
	v_add_f16_e32 v86, v62, v63
	v_fmac_f16_e32 v22, -0.5, v47
	v_sub_f16_e32 v47, v62, v63
	v_add_f16_e32 v62, v73, v62
	v_sub_f16_e32 v79, v79, v93
	v_fmac_f16_e32 v73, -0.5, v86
	v_add_f16_e32 v86, v88, v93
	v_fmamk_f16 v88, v47, 0xbaee, v22
	v_fmac_f16_e32 v22, 0x3aee, v47
	v_add_f16_e32 v47, v55, v83
	v_add_f16_e32 v62, v62, v63
	v_fmamk_f16 v63, v79, 0x3aee, v73
	v_fmac_f16_e32 v73, 0xbaee, v79
	v_add_f16_e32 v79, v64, v65
	v_fmac_f16_e32 v17, -0.5, v47
	v_sub_f16_e32 v47, v64, v65
	v_add_f16_e32 v64, v74, v64
	v_sub_f16_e32 v55, v55, v83
	v_fmac_f16_e32 v74, -0.5, v79
	v_add_f16_e32 v79, v89, v83
	v_fmamk_f16 v83, v47, 0xbaee, v17
	v_fmac_f16_e32 v17, 0x3aee, v47
	v_add_f16_e32 v47, v53, v57
	v_add_f16_e32 v64, v64, v65
	v_fmamk_f16 v65, v55, 0x3aee, v74
	v_fmac_f16_e32 v74, 0xbaee, v55
	v_add_f16_e32 v55, v59, v67
	v_add_f16_e32 v89, v18, v53
	v_fmac_f16_e32 v18, -0.5, v47
	v_sub_f16_e32 v47, v59, v67
	v_add_f16_e32 v59, v75, v59
	v_fmac_f16_e32 v75, -0.5, v55
	v_add_f16_e32 v55, v89, v57
	v_sub_f16_e32 v53, v53, v57
	v_fmamk_f16 v57, v47, 0xbaee, v18
	v_fmac_f16_e32 v18, 0x3aee, v47
	v_add_f16_e32 v47, v51, v52
	v_add_f16_e32 v59, v59, v67
	v_fmamk_f16 v67, v53, 0x3aee, v75
	v_fmac_f16_e32 v75, 0xbaee, v53
	v_add_f16_e32 v53, v56, v58
	v_add_f16_e32 v89, v16, v51
	v_fmac_f16_e32 v16, -0.5, v47
	v_sub_f16_e32 v47, v56, v58
	v_add_f16_e32 v56, v78, v56
	v_fmac_f16_e32 v78, -0.5, v53
	v_sub_f16_e32 v51, v51, v52
	v_add_f16_e32 v52, v89, v52
	v_fmamk_f16 v53, v47, 0xbaee, v16
	v_fmac_f16_e32 v16, 0x3aee, v47
	v_add_f16_e32 v47, v49, v50
	v_add_f16_e32 v56, v56, v58
	v_fmamk_f16 v58, v51, 0x3aee, v78
	v_fmac_f16_e32 v78, 0xbaee, v51
	v_add_f16_e32 v51, v54, v27
	v_add_f16_e32 v89, v15, v49
	v_fmac_f16_e32 v15, -0.5, v47
	v_sub_f16_e32 v47, v54, v27
	v_add_f16_e32 v54, v5, v54
	v_fmac_f16_e32 v5, -0.5, v51
	v_sub_f16_e32 v49, v49, v50
	v_add_f16_e32 v51, v89, v50
	v_fmamk_f16 v50, v47, 0xbaee, v15
	v_add_f16_e32 v54, v54, v27
	v_add_f16_e32 v27, v48, v84
	v_fmac_f16_e32 v15, 0x3aee, v47
	v_fmamk_f16 v89, v49, 0x3aee, v5
	v_fmac_f16_e32 v5, 0xbaee, v49
	v_add_f16_e32 v47, v30, v44
	v_add_f16_e32 v49, v24, v48
	v_fmac_f16_e32 v24, -0.5, v27
	v_sub_f16_e32 v27, v30, v44
	v_add_f16_e32 v30, v80, v30
	v_fmac_f16_e32 v80, -0.5, v47
	v_add_f16_e32 v47, v49, v84
	v_sub_f16_e32 v48, v48, v84
	v_fmamk_f16 v49, v27, 0xbaee, v24
	v_fmac_f16_e32 v24, 0x3aee, v27
	v_add_f16_e32 v27, v61, v69
	v_add_f16_e32 v84, v30, v44
	v_add_f16_e32 v30, v28, v60
	v_add_f16_e32 v44, v23, v61
	v_fmamk_f16 v90, v48, 0x3aee, v80
	v_fmac_f16_e32 v23, -0.5, v27
	v_sub_f16_e32 v27, v28, v60
	v_add_f16_e32 v28, v46, v28
	v_fmac_f16_e32 v46, -0.5, v30
	v_add_f16_e32 v30, v44, v69
	v_sub_f16_e32 v44, v61, v69
	v_fmac_f16_e32 v80, 0xbaee, v48
	v_fmamk_f16 v48, v27, 0xbaee, v23
	v_fmac_f16_e32 v23, 0x3aee, v27
	v_add_f16_e32 v27, v29, v70
	v_add_f16_e32 v60, v28, v60
	;; [unrolled: 1-line block ×3, first 2 shown]
	v_fmamk_f16 v61, v44, 0x3aee, v46
	v_fmac_f16_e32 v46, 0xbaee, v44
	v_add_f16_e32 v44, v19, v29
	v_fmac_f16_e32 v19, -0.5, v27
	v_sub_f16_e32 v27, v66, v26
	v_add_f16_e32 v66, v45, v66
	v_fmac_f16_e32 v45, -0.5, v28
	v_sub_f16_e32 v28, v29, v70
	s_barrier
	buffer_gl0_inv
	ds_write_b16 v0, v25
	ds_write_b16 v0, v85 offset:900
	ds_write_b16 v0, v20 offset:1800
	;; [unrolled: 1-line block ×8, first 2 shown]
	ds_write_b16 v71, v79
	ds_write_b16 v71, v83 offset:900
	ds_write_b16 v71, v17 offset:1800
	;; [unrolled: 1-line block ×5, first 2 shown]
	v_add3_u32 v55, 0, v14, v13
	v_lshl_add_u32 v57, v36, 1, 0
	v_add_f16_e32 v29, v44, v70
	v_lshl_add_u32 v70, v43, 1, 0
	v_fmamk_f16 v44, v27, 0xbaee, v19
	v_fmac_f16_e32 v19, 0x3aee, v27
	v_lshl_add_u32 v79, v37, 1, 0
	v_add_f16_e32 v66, v66, v26
	v_fmamk_f16 v69, v28, 0x3aee, v45
	v_fmac_f16_e32 v45, 0xbaee, v28
	ds_write_b16 v35, v52 offset:3150
	ds_write_b16 v35, v53 offset:4050
	;; [unrolled: 1-line block ×3, first 2 shown]
	ds_write_b16 v55, v51
	ds_write_b16 v55, v50 offset:900
	ds_write_b16 v55, v15 offset:1800
	;; [unrolled: 1-line block ×11, first 2 shown]
	s_waitcnt lgkmcnt(0)
	s_barrier
	buffer_gl0_inv
	ds_read_u16 v42, v0
	ds_read_u16 v47, v0 offset:270
	ds_read_u16 v13, v0 offset:540
	;; [unrolled: 1-line block ×29, first 2 shown]
	s_waitcnt lgkmcnt(0)
	s_barrier
	buffer_gl0_inv
	ds_write_b16 v0, v76
	ds_write_b16 v0, v77 offset:900
	ds_write_b16 v0, v68 offset:1800
	ds_write_b16 v0, v81 offset:270
	ds_write_b16 v0, v82 offset:1170
	ds_write_b16 v0, v72 offset:2070
	ds_write_b16 v0, v62 offset:540
	ds_write_b16 v0, v63 offset:1440
	ds_write_b16 v0, v73 offset:2340
	ds_write_b16 v71, v64
	ds_write_b16 v71, v65 offset:900
	ds_write_b16 v71, v74 offset:1800
	ds_write_b16 v35, v59 offset:2880
	ds_write_b16 v35, v67 offset:3780
	ds_write_b16 v35, v75 offset:4680
	ds_write_b16 v35, v56 offset:3150
	ds_write_b16 v35, v58 offset:4050
	ds_write_b16 v35, v78 offset:4950
	;; [unrolled: 9-line block ×3, first 2 shown]
	ds_write_b16 v79, v66 offset:5400
	ds_write_b16 v79, v69 offset:6300
	;; [unrolled: 1-line block ×3, first 2 shown]
	s_waitcnt lgkmcnt(0)
	s_barrier
	buffer_gl0_inv
	s_and_saveexec_b32 s0, vcc_lo
	s_cbranch_execz .LBB0_15
; %bb.14:
	v_lshlrev_b32_e32 v5, 1, v41
	v_add_co_u32 v11, vcc_lo, 0x1000, v11
	v_add_co_ci_u32_e32 v12, vcc_lo, 0, v12, vcc_lo
	v_lshlrev_b64 v[45:46], 2, v[5:6]
	v_add_co_u32 v7, vcc_lo, 0x1000, v7
	v_add_co_ci_u32_e32 v8, vcc_lo, 0, v8, vcc_lo
	v_lshlrev_b32_e32 v5, 1, v40
	v_add_co_u32 v41, vcc_lo, s12, v45
	v_add_co_ci_u32_e32 v45, vcc_lo, s13, v46, vcc_lo
	s_clause 0x1
	global_load_dwordx2 v[11:12], v[11:12], off offset:1264
	global_load_dwordx2 v[7:8], v[7:8], off offset:1264
	v_add_co_u32 v40, vcc_lo, 0x1000, v41
	v_add_co_ci_u32_e32 v41, vcc_lo, 0, v45, vcc_lo
	v_lshlrev_b64 v[45:46], 2, v[5:6]
	v_lshlrev_b32_e32 v5, 1, v39
	v_add_nc_u32_e32 v62, 0x87, v31
	global_load_dwordx2 v[40:41], v[40:41], off offset:1264
	v_add_nc_u32_e32 v94, 0x10e, v31
	v_add_co_u32 v45, vcc_lo, s12, v45
	v_add_co_ci_u32_e32 v46, vcc_lo, s13, v46, vcc_lo
	v_lshlrev_b64 v[54:55], 2, v[5:6]
	v_add_co_u32 v45, vcc_lo, 0x1000, v45
	v_add_co_ci_u32_e32 v46, vcc_lo, 0, v46, vcc_lo
	v_mul_hi_u32 v63, 0xc22e4507, v62
	v_add_co_u32 v5, vcc_lo, s12, v54
	global_load_dwordx2 v[45:46], v[45:46], off offset:1264
	v_add_co_ci_u32_e32 v39, vcc_lo, s13, v55, vcc_lo
	v_add_co_u32 v54, vcc_lo, 0x1000, v5
	v_lshlrev_b32_e32 v5, 1, v38
	v_add_co_ci_u32_e32 v55, vcc_lo, 0, v39, vcc_lo
	v_mul_hi_u32 v95, 0xc22e4507, v94
	global_load_dwordx2 v[38:39], v[54:55], off offset:1264
	v_lshlrev_b64 v[54:55], 2, v[5:6]
	v_add_co_u32 v5, vcc_lo, s12, v54
	v_add_co_ci_u32_e32 v55, vcc_lo, s13, v55, vcc_lo
	v_add_co_u32 v54, vcc_lo, 0x1000, v5
	v_lshlrev_b32_e32 v5, 1, v34
	v_add_co_ci_u32_e32 v55, vcc_lo, 0, v55, vcc_lo
	v_lshlrev_b64 v[56:57], 2, v[5:6]
	global_load_dwordx2 v[54:55], v[54:55], off offset:1264
	v_add_co_u32 v5, vcc_lo, s12, v56
	v_add_co_ci_u32_e32 v34, vcc_lo, s13, v57, vcc_lo
	v_add_co_u32 v56, vcc_lo, 0x1000, v5
	v_add_co_ci_u32_e32 v57, vcc_lo, 0, v34, vcc_lo
	v_lshlrev_b32_e32 v5, 1, v33
	global_load_dwordx2 v[33:34], v[56:57], off offset:1264
	v_lshlrev_b64 v[56:57], 2, v[5:6]
	v_add_co_u32 v5, vcc_lo, s12, v56
	v_add_co_ci_u32_e32 v57, vcc_lo, s13, v57, vcc_lo
	v_add_co_u32 v56, vcc_lo, 0x1000, v5
	v_lshlrev_b32_e32 v5, 1, v32
	v_add_co_ci_u32_e32 v57, vcc_lo, 0, v57, vcc_lo
	v_lshlrev_b64 v[58:59], 2, v[5:6]
	global_load_dwordx2 v[56:57], v[56:57], off offset:1264
	v_add_co_u32 v5, vcc_lo, s12, v58
	v_add_co_ci_u32_e32 v32, vcc_lo, s13, v59, vcc_lo
	v_add_co_u32 v58, vcc_lo, 0x1000, v5
	v_add_co_ci_u32_e32 v59, vcc_lo, 0, v32, vcc_lo
	;; [unrolled: 2-line block ×3, first 2 shown]
	s_clause 0x1
	global_load_dwordx2 v[58:59], v[58:59], off offset:1264
	global_load_dwordx2 v[60:61], v[9:10], off offset:1264
	v_mul_lo_u32 v5, s3, v3
	v_mul_lo_u32 v9, s2, v4
	v_mad_u64_u32 v[3:4], null, s2, v3, 0
	v_mul_hi_u32 v10, 0xc22e4507, v31
	ds_read_u16 v32, v0 offset:5130
	ds_read_u16 v66, v35 offset:2430
	;; [unrolled: 1-line block ×22, first 2 shown]
	ds_read_u16 v86, v0
	ds_read_u16 v87, v0 offset:7020
	ds_read_u16 v88, v0 offset:6750
	;; [unrolled: 1-line block ×7, first 2 shown]
	v_lshlrev_b64 v[0:1], 2, v[1:2]
	v_add3_u32 v4, v4, v9, v5
	v_lshrrev_b32_e32 v9, 10, v63
	v_lshrrev_b32_e32 v5, 10, v10
	v_lshlrev_b64 v[3:4], 2, v[3:4]
	v_mul_u32_u24_e32 v5, 0x546, v5
	v_add_co_u32 v3, vcc_lo, s10, v3
	v_sub_nc_u32_e32 v2, v31, v5
	v_mul_u32_u24_e32 v5, 0x546, v9
	v_add_co_ci_u32_e32 v4, vcc_lo, s11, v4, vcc_lo
	v_add_co_u32 v0, vcc_lo, v3, v0
	v_lshlrev_b32_e32 v2, 2, v2
	v_add_co_ci_u32_e32 v1, vcc_lo, v4, v1, vcc_lo
	v_sub_nc_u32_e32 v4, v62, v5
	v_add_co_u32 v2, vcc_lo, v0, v2
	v_add_co_ci_u32_e32 v3, vcc_lo, 0, v1, vcc_lo
	v_mad_u32_u24 v5, 0xfd2, v9, v4
	v_add_co_u32 v9, vcc_lo, 0x1000, v2
	v_add_co_ci_u32_e32 v10, vcc_lo, 0, v3, vcc_lo
	v_add_co_u32 v64, vcc_lo, 0x2800, v2
	v_add_co_ci_u32_e32 v65, vcc_lo, 0, v3, vcc_lo
	v_lshlrev_b64 v[62:63], 2, v[5:6]
	v_add_co_u32 v62, vcc_lo, v0, v62
	v_add_co_ci_u32_e32 v63, vcc_lo, v1, v63, vcc_lo
	s_waitcnt vmcnt(9)
	v_mul_f16_sdwa v4, v51, v11 dst_sel:DWORD dst_unused:UNUSED_PAD src0_sel:DWORD src1_sel:WORD_1
	v_mul_f16_sdwa v96, v53, v12 dst_sel:DWORD dst_unused:UNUSED_PAD src0_sel:DWORD src1_sel:WORD_1
	s_waitcnt lgkmcnt(15)
	v_mul_f16_sdwa v97, v78, v11 dst_sel:DWORD dst_unused:UNUSED_PAD src0_sel:DWORD src1_sel:WORD_1
	s_waitcnt lgkmcnt(1)
	v_mul_f16_sdwa v98, v92, v12 dst_sel:DWORD dst_unused:UNUSED_PAD src0_sel:DWORD src1_sel:WORD_1
	s_waitcnt vmcnt(8)
	v_mul_f16_sdwa v99, v50, v7 dst_sel:DWORD dst_unused:UNUSED_PAD src0_sel:DWORD src1_sel:WORD_1
	v_mul_f16_sdwa v100, v52, v8 dst_sel:DWORD dst_unused:UNUSED_PAD src0_sel:DWORD src1_sel:WORD_1
	v_mul_f16_sdwa v101, v79, v7 dst_sel:DWORD dst_unused:UNUSED_PAD src0_sel:DWORD src1_sel:WORD_1
	s_waitcnt lgkmcnt(0)
	v_mul_f16_sdwa v102, v93, v8 dst_sel:DWORD dst_unused:UNUSED_PAD src0_sel:DWORD src1_sel:WORD_1
	v_fma_f16 v4, v11, v78, -v4
	v_fma_f16 v78, v12, v92, -v96
	v_fmac_f16_e32 v97, v51, v11
	v_fmac_f16_e32 v98, v53, v12
	v_fma_f16 v11, v7, v79, -v99
	v_fma_f16 v12, v8, v93, -v100
	v_fmac_f16_e32 v101, v50, v7
	v_fmac_f16_e32 v102, v52, v8
	v_add_f16_e32 v7, v4, v78
	v_add_f16_e32 v50, v85, v4
	;; [unrolled: 1-line block ×8, first 2 shown]
	v_sub_f16_e32 v8, v97, v98
	v_sub_f16_e32 v4, v4, v78
	;; [unrolled: 1-line block ×4, first 2 shown]
	v_fma_f16 v85, -0.5, v7, v85
	v_add_f16_e32 v50, v50, v78
	v_fma_f16 v47, -0.5, v51, v47
	v_add_f16_e32 v51, v52, v98
	;; [unrolled: 2-line block ×4, first 2 shown]
	s_waitcnt vmcnt(7)
	v_mul_f16_sdwa v53, v48, v40 dst_sel:DWORD dst_unused:UNUSED_PAD src0_sel:DWORD src1_sel:WORD_1
	v_mul_f16_sdwa v78, v49, v41 dst_sel:DWORD dst_unused:UNUSED_PAD src0_sel:DWORD src1_sel:WORD_1
	;; [unrolled: 1-line block ×4, first 2 shown]
	v_fmamk_f16 v93, v8, 0xbaee, v85
	v_fmac_f16_e32 v85, 0x3aee, v8
	v_fmamk_f16 v96, v4, 0x3aee, v47
	v_fmac_f16_e32 v47, 0xbaee, v4
	;; [unrolled: 2-line block ×4, first 2 shown]
	v_pack_b32_f16 v11, v52, v12
	v_fma_f16 v12, v40, v32, -v53
	v_fma_f16 v32, v41, v68, -v78
	v_fmac_f16_e32 v86, v48, v40
	v_fmac_f16_e32 v92, v49, v41
	s_waitcnt vmcnt(6)
	v_mul_f16_sdwa v40, v43, v45 dst_sel:DWORD dst_unused:UNUSED_PAD src0_sel:DWORD src1_sel:WORD_1
	v_mul_f16_sdwa v41, v44, v46 dst_sel:DWORD dst_unused:UNUSED_PAD src0_sel:DWORD src1_sel:WORD_1
	v_mul_f16_sdwa v48, v71, v45 dst_sel:DWORD dst_unused:UNUSED_PAD src0_sel:DWORD src1_sel:WORD_1
	v_mul_f16_sdwa v49, v69, v46 dst_sel:DWORD dst_unused:UNUSED_PAD src0_sel:DWORD src1_sel:WORD_1
	global_store_dword v[2:3], v11, off
	v_pack_b32_f16 v2, v42, v7
	v_pack_b32_f16 v42, v8, v4
	v_add_f16_e32 v3, v12, v32
	v_add_f16_e32 v4, v66, v12
	;; [unrolled: 1-line block ×3, first 2 shown]
	v_fma_f16 v40, v45, v71, -v40
	v_fma_f16 v41, v46, v69, -v41
	v_fmac_f16_e32 v48, v43, v45
	v_fmac_f16_e32 v49, v44, v46
	s_waitcnt vmcnt(5)
	v_mul_f16_sdwa v43, v30, v38 dst_sel:DWORD dst_unused:UNUSED_PAD src0_sel:DWORD src1_sel:WORD_1
	v_mul_f16_sdwa v44, v36, v39 dst_sel:DWORD dst_unused:UNUSED_PAD src0_sel:DWORD src1_sel:WORD_1
	;; [unrolled: 1-line block ×4, first 2 shown]
	v_sub_f16_e32 v11, v86, v92
	v_sub_f16_e32 v12, v12, v32
	v_add_f16_e32 v8, v37, v86
	global_store_dword v[9:10], v2, off offset:1304
	v_fma_f16 v2, -0.5, v3, v66
	v_add_f16_e32 v4, v4, v32
	v_fma_f16 v3, -0.5, v7, v37
	v_add_f16_e32 v10, v40, v41
	v_sub_f16_e32 v32, v48, v49
	v_add_f16_e32 v37, v67, v40
	v_add_f16_e32 v52, v48, v49
	;; [unrolled: 1-line block ×3, first 2 shown]
	v_fma_f16 v43, v38, v72, -v43
	v_fma_f16 v44, v39, v70, -v44
	v_fmac_f16_e32 v45, v30, v38
	v_fmac_f16_e32 v46, v36, v39
	s_waitcnt vmcnt(4)
	v_mul_f16_sdwa v30, v27, v54 dst_sel:DWORD dst_unused:UNUSED_PAD src0_sel:DWORD src1_sel:WORD_1
	v_mul_f16_sdwa v36, v26, v55 dst_sel:DWORD dst_unused:UNUSED_PAD src0_sel:DWORD src1_sel:WORD_1
	;; [unrolled: 1-line block ×4, first 2 shown]
	v_add_f16_e32 v7, v8, v92
	v_sub_f16_e32 v40, v40, v41
	v_fmamk_f16 v8, v11, 0xbaee, v2
	v_fmac_f16_e32 v2, 0x3aee, v11
	v_fma_f16 v10, -0.5, v10, v67
	v_add_f16_e32 v37, v37, v41
	v_fma_f16 v11, -0.5, v52, v29
	v_add_f16_e32 v29, v48, v49
	v_add_f16_e32 v41, v43, v44
	v_sub_f16_e32 v48, v45, v46
	v_add_f16_e32 v49, v35, v43
	v_add_f16_e32 v52, v45, v46
	;; [unrolled: 1-line block ×3, first 2 shown]
	v_fma_f16 v30, v54, v73, -v30
	v_fma_f16 v36, v55, v87, -v36
	v_fmac_f16_e32 v38, v27, v54
	v_fmac_f16_e32 v39, v26, v55
	s_waitcnt vmcnt(3)
	v_mul_f16_sdwa v27, v25, v33 dst_sel:DWORD dst_unused:UNUSED_PAD src0_sel:DWORD src1_sel:WORD_1
	v_mul_f16_sdwa v53, v24, v34 dst_sel:DWORD dst_unused:UNUSED_PAD src0_sel:DWORD src1_sel:WORD_1
	;; [unrolled: 1-line block ×4, first 2 shown]
	v_fmamk_f16 v9, v12, 0x3aee, v3
	v_fmac_f16_e32 v3, 0xbaee, v12
	v_sub_f16_e32 v43, v43, v44
	v_fmamk_f16 v12, v32, 0xbaee, v10
	v_fmac_f16_e32 v10, 0x3aee, v32
	v_fmamk_f16 v26, v40, 0x3aee, v11
	v_fmac_f16_e32 v11, 0xbaee, v40
	v_fma_f16 v32, -0.5, v41, v35
	v_add_f16_e32 v35, v49, v44
	v_fma_f16 v28, -0.5, v52, v28
	v_add_f16_e32 v40, v45, v46
	v_add_f16_e32 v41, v30, v36
	v_sub_f16_e32 v44, v38, v39
	v_add_f16_e32 v45, v80, v30
	v_add_f16_e32 v46, v38, v39
	;; [unrolled: 1-line block ×3, first 2 shown]
	v_fma_f16 v27, v33, v74, -v27
	v_fma_f16 v49, v34, v88, -v53
	v_fmac_f16_e32 v54, v25, v33
	v_fmac_f16_e32 v55, v24, v34
	s_waitcnt vmcnt(2)
	v_mul_f16_sdwa v24, v23, v56 dst_sel:DWORD dst_unused:UNUSED_PAD src0_sel:DWORD src1_sel:WORD_1
	v_mul_f16_sdwa v25, v21, v57 dst_sel:DWORD dst_unused:UNUSED_PAD src0_sel:DWORD src1_sel:WORD_1
	;; [unrolled: 1-line block ×4, first 2 shown]
	v_sub_f16_e32 v30, v30, v36
	v_fmamk_f16 v52, v48, 0xbaee, v32
	v_fmac_f16_e32 v32, 0x3aee, v48
	v_fmamk_f16 v48, v43, 0x3aee, v28
	v_fmac_f16_e32 v28, 0xbaee, v43
	v_fma_f16 v41, -0.5, v41, v80
	v_add_f16_e32 v36, v45, v36
	v_fma_f16 v43, -0.5, v46, v22
	v_add_f16_e32 v38, v38, v39
	v_add_f16_e32 v22, v27, v49
	v_sub_f16_e32 v39, v54, v55
	v_add_f16_e32 v45, v81, v27
	v_add_f16_e32 v46, v54, v55
	v_add_f16_e32 v53, v19, v54
	v_fma_f16 v24, v56, v75, -v24
	v_fma_f16 v25, v57, v89, -v25
	v_fmac_f16_e32 v33, v23, v56
	v_fmac_f16_e32 v34, v21, v57
	s_waitcnt vmcnt(1)
	v_mul_f16_sdwa v54, v76, v58 dst_sel:DWORD dst_unused:UNUSED_PAD src0_sel:DWORD src1_sel:WORD_1
	v_mul_f16_sdwa v56, v90, v59 dst_sel:DWORD dst_unused:UNUSED_PAD src0_sel:DWORD src1_sel:WORD_1
	s_waitcnt vmcnt(0)
	v_mul_f16_sdwa v57, v18, v60 dst_sel:DWORD dst_unused:UNUSED_PAD src0_sel:DWORD src1_sel:WORD_1
	v_mul_f16_sdwa v66, v16, v61 dst_sel:DWORD dst_unused:UNUSED_PAD src0_sel:DWORD src1_sel:WORD_1
	v_mul_f16_sdwa v67, v77, v60 dst_sel:DWORD dst_unused:UNUSED_PAD src0_sel:DWORD src1_sel:WORD_1
	v_mul_f16_sdwa v68, v91, v61 dst_sel:DWORD dst_unused:UNUSED_PAD src0_sel:DWORD src1_sel:WORD_1
	v_sub_f16_e32 v27, v27, v49
	v_mul_f16_sdwa v21, v20, v58 dst_sel:DWORD dst_unused:UNUSED_PAD src0_sel:DWORD src1_sel:WORD_1
	v_mul_f16_sdwa v23, v17, v59 dst_sel:DWORD dst_unused:UNUSED_PAD src0_sel:DWORD src1_sel:WORD_1
	v_fmamk_f16 v69, v44, 0xbaee, v41
	v_fmac_f16_e32 v41, 0x3aee, v44
	v_fmamk_f16 v44, v30, 0x3aee, v43
	v_fmac_f16_e32 v43, 0xbaee, v30
	v_fma_f16 v30, -0.5, v22, v81
	v_add_f16_e32 v45, v45, v49
	v_fma_f16 v46, -0.5, v46, v19
	v_add_f16_e32 v49, v53, v55
	v_add_f16_e32 v19, v24, v25
	v_sub_f16_e32 v22, v33, v34
	v_add_f16_e32 v53, v82, v24
	v_add_f16_e32 v55, v33, v34
	;; [unrolled: 1-line block ×3, first 2 shown]
	v_fmac_f16_e32 v54, v20, v58
	v_fmac_f16_e32 v56, v17, v59
	v_fma_f16 v17, v60, v77, -v57
	v_fma_f16 v20, v61, v91, -v66
	v_fmac_f16_e32 v67, v18, v60
	v_fmac_f16_e32 v68, v16, v61
	v_sub_f16_e32 v24, v24, v25
	v_fma_f16 v21, v58, v76, -v21
	v_fma_f16 v23, v59, v90, -v23
	v_fmamk_f16 v57, v39, 0xbaee, v30
	v_fmac_f16_e32 v30, 0x3aee, v39
	v_fmamk_f16 v39, v27, 0x3aee, v46
	v_fmac_f16_e32 v46, 0xbaee, v27
	v_fma_f16 v27, -0.5, v19, v82
	v_add_f16_e32 v25, v53, v25
	v_fma_f16 v53, -0.5, v55, v15
	v_add_f16_e32 v33, v33, v34
	v_sub_f16_e32 v16, v54, v56
	v_add_f16_e32 v19, v54, v56
	v_add_f16_e32 v34, v14, v54
	;; [unrolled: 1-line block ×6, first 2 shown]
	v_sub_f16_e32 v21, v21, v23
	v_sub_f16_e32 v55, v67, v68
	v_add_f16_e32 v58, v84, v17
	v_sub_f16_e32 v17, v17, v20
	v_fmamk_f16 v66, v24, 0x3aee, v53
	v_fmac_f16_e32 v53, 0xbaee, v24
	v_fma_f16 v24, -0.5, v19, v14
	v_fma_f16 v19, -0.5, v54, v84
	;; [unrolled: 1-line block ×3, first 2 shown]
	v_add_f16_e32 v60, v13, v67
	v_add_nc_u32_e32 v13, 0x546, v5
	v_mov_b32_e32 v14, v6
	v_fmamk_f16 v59, v21, 0x3aee, v24
	v_fmac_f16_e32 v24, 0xbaee, v21
	v_fmamk_f16 v21, v55, 0xbaee, v19
	v_fmac_f16_e32 v19, 0x3aee, v55
	;; [unrolled: 2-line block ×3, first 2 shown]
	v_lshrrev_b32_e32 v17, 10, v95
	global_store_dword v[64:65], v42, off offset:560
	v_lshlrev_b64 v[13:14], 2, v[13:14]
	v_add_nc_u32_e32 v42, 0x195, v31
	v_fmamk_f16 v61, v22, 0xbaee, v27
	v_fmac_f16_e32 v27, 0x3aee, v22
	v_fma_f16 v22, -0.5, v15, v83
	v_add_f16_e32 v23, v18, v23
	v_pack_b32_f16 v15, v51, v50
	v_add_nc_u32_e32 v5, 0xa8c, v5
	v_mul_u32_u24_e32 v18, 0x546, v17
	v_mul_hi_u32 v50, 0xc22e4507, v42
	v_add_co_u32 v13, vcc_lo, v0, v13
	v_add_f16_e32 v20, v58, v20
	v_fmamk_f16 v58, v16, 0xbaee, v22
	v_fmac_f16_e32 v22, 0x3aee, v16
	global_store_dword v[62:63], v15, off
	v_lshlrev_b64 v[15:16], 2, v[5:6]
	v_sub_nc_u32_e32 v5, v94, v18
	v_add_co_ci_u32_e32 v14, vcc_lo, v1, v14, vcc_lo
	v_pack_b32_f16 v47, v47, v85
	v_pack_b32_f16 v51, v96, v93
	v_mad_u32_u24 v5, 0xfd2, v17, v5
	v_add_co_u32 v15, vcc_lo, v0, v15
	global_store_dword v[13:14], v47, off
	v_lshrrev_b32_e32 v47, 10, v50
	v_add_co_ci_u32_e32 v16, vcc_lo, v1, v16, vcc_lo
	v_add_nc_u32_e32 v17, 0x546, v5
	v_mov_b32_e32 v18, v6
	v_lshlrev_b64 v[13:14], 2, v[5:6]
	v_add_nc_u32_e32 v5, 0xa8c, v5
	v_mul_u32_u24_e32 v50, 0x546, v47
	global_store_dword v[15:16], v51, off
	v_lshlrev_b64 v[15:16], 2, v[17:18]
	v_add_f16_e32 v34, v34, v56
	v_lshlrev_b64 v[17:18], 2, v[5:6]
	v_sub_nc_u32_e32 v5, v42, v50
	v_add_f16_e32 v56, v60, v68
	v_add_co_u32 v13, vcc_lo, v0, v13
	v_add_co_ci_u32_e32 v14, vcc_lo, v1, v14, vcc_lo
	v_mad_u32_u24 v5, 0xfd2, v47, v5
	v_add_nc_u32_e32 v47, 0x21c, v31
	v_add_co_u32 v15, vcc_lo, v0, v15
	v_pack_b32_f16 v51, v56, v20
	v_add_co_ci_u32_e32 v16, vcc_lo, v1, v16, vcc_lo
	v_mul_hi_u32 v50, 0xc22e4507, v47
	v_pack_b32_f16 v42, v54, v19
	v_lshlrev_b64 v[19:20], 2, v[5:6]
	v_add_co_u32 v17, vcc_lo, v0, v17
	v_add_co_ci_u32_e32 v18, vcc_lo, v1, v18, vcc_lo
	v_pack_b32_f16 v21, v55, v21
	global_store_dword v[13:14], v51, off
	global_store_dword v[15:16], v42, off
	global_store_dword v[17:18], v21, off
	v_add_co_u32 v13, vcc_lo, v0, v19
	v_lshrrev_b32_e32 v17, 10, v50
	v_add_co_ci_u32_e32 v14, vcc_lo, v1, v20, vcc_lo
	v_pack_b32_f16 v18, v34, v23
	v_add_nc_u32_e32 v21, 0x2a3, v31
	v_add_nc_u32_e32 v15, 0x546, v5
	;; [unrolled: 1-line block ×3, first 2 shown]
	v_mul_u32_u24_e32 v19, 0x546, v17
	global_store_dword v[13:14], v18, off
	v_mul_hi_u32 v18, 0xc22e4507, v21
	v_mov_b32_e32 v16, v6
	v_lshlrev_b64 v[13:14], 2, v[5:6]
	v_sub_nc_u32_e32 v5, v47, v19
	v_pack_b32_f16 v23, v24, v22
	v_mov_b32_e32 v20, v6
	v_lshlrev_b64 v[15:16], 2, v[15:16]
	v_pack_b32_f16 v25, v33, v25
	v_mad_u32_u24 v5, 0xfd2, v17, v5
	v_lshrrev_b32_e32 v24, 10, v18
	v_add_nc_u32_e32 v42, 0x32a, v31
	v_pack_b32_f16 v34, v59, v58
	v_add_co_u32 v15, vcc_lo, v0, v15
	v_add_nc_u32_e32 v19, 0x546, v5
	v_mul_u32_u24_e32 v22, 0x546, v24
	v_lshlrev_b64 v[17:18], 2, v[5:6]
	v_add_co_ci_u32_e32 v16, vcc_lo, v1, v16, vcc_lo
	v_add_co_u32 v13, vcc_lo, v0, v13
	v_lshlrev_b64 v[19:20], 2, v[19:20]
	v_add_nc_u32_e32 v5, 0xa8c, v5
	v_sub_nc_u32_e32 v33, v21, v22
	v_add_co_ci_u32_e32 v14, vcc_lo, v1, v14, vcc_lo
	v_add_co_u32 v17, vcc_lo, v0, v17
	v_add_co_ci_u32_e32 v18, vcc_lo, v1, v18, vcc_lo
	v_lshlrev_b64 v[21:22], 2, v[5:6]
	v_mad_u32_u24 v5, 0xfd2, v24, v33
	v_add_co_u32 v19, vcc_lo, v0, v19
	v_mul_hi_u32 v24, 0xc22e4507, v42
	v_add_co_ci_u32_e32 v20, vcc_lo, v1, v20, vcc_lo
	v_pack_b32_f16 v27, v53, v27
	global_store_dword v[15:16], v23, off
	global_store_dword v[13:14], v34, off
	;; [unrolled: 1-line block ×4, first 2 shown]
	v_add_nc_u32_e32 v15, 0x546, v5
	v_mov_b32_e32 v16, v6
	v_lshlrev_b64 v[13:14], 2, v[5:6]
	v_lshrrev_b32_e32 v23, 10, v24
	v_add_co_u32 v17, vcc_lo, v0, v21
	v_lshlrev_b64 v[15:16], 2, v[15:16]
	v_add_co_ci_u32_e32 v18, vcc_lo, v1, v22, vcc_lo
	v_pack_b32_f16 v21, v66, v61
	v_add_co_u32 v13, vcc_lo, v0, v13
	v_mul_u32_u24_e32 v19, 0x546, v23
	v_add_co_ci_u32_e32 v14, vcc_lo, v1, v14, vcc_lo
	v_add_co_u32 v15, vcc_lo, v0, v15
	v_pack_b32_f16 v22, v49, v45
	global_store_dword v[17:18], v21, off
	v_add_nc_u32_e32 v21, 0x3b1, v31
	v_add_co_ci_u32_e32 v16, vcc_lo, v1, v16, vcc_lo
	v_pack_b32_f16 v25, v46, v30
	v_add_nc_u32_e32 v5, 0xa8c, v5
	v_sub_nc_u32_e32 v24, v42, v19
	global_store_dword v[13:14], v22, off
	global_store_dword v[15:16], v25, off
	v_mul_hi_u32 v22, 0xc22e4507, v21
	v_lshlrev_b64 v[19:20], 2, v[5:6]
	v_mad_u32_u24 v5, 0xfd2, v23, v24
	v_mov_b32_e32 v14, v6
	v_pack_b32_f16 v23, v39, v57
	v_pack_b32_f16 v27, v44, v69
	v_pack_b32_f16 v24, v38, v36
	v_add_nc_u32_e32 v13, 0x546, v5
	v_lshlrev_b64 v[17:18], 2, v[5:6]
	v_add_nc_u32_e32 v5, 0xa8c, v5
	v_lshrrev_b32_e32 v22, 10, v22
	v_add_co_u32 v15, vcc_lo, v0, v19
	v_add_co_ci_u32_e32 v16, vcc_lo, v1, v20, vcc_lo
	v_lshlrev_b64 v[19:20], 2, v[5:6]
	v_mul_u32_u24_e32 v5, 0x546, v22
	v_lshlrev_b64 v[13:14], 2, v[13:14]
	v_add_co_u32 v17, vcc_lo, v0, v17
	v_add_co_ci_u32_e32 v18, vcc_lo, v1, v18, vcc_lo
	v_sub_nc_u32_e32 v5, v21, v5
	v_add_nc_u32_e32 v21, 0x438, v31
	v_add_co_u32 v13, vcc_lo, v0, v13
	v_add_co_ci_u32_e32 v14, vcc_lo, v1, v14, vcc_lo
	v_mad_u32_u24 v5, 0xfd2, v22, v5
	v_mul_hi_u32 v22, 0xc22e4507, v21
	v_add_co_u32 v19, vcc_lo, v0, v19
	v_add_co_ci_u32_e32 v20, vcc_lo, v1, v20, vcc_lo
	v_pack_b32_f16 v25, v43, v41
	global_store_dword v[15:16], v23, off
	global_store_dword v[17:18], v24, off
	;; [unrolled: 1-line block ×4, first 2 shown]
	v_lshrrev_b32_e32 v19, 10, v22
	v_add_nc_u32_e32 v15, 0x546, v5
	v_mov_b32_e32 v16, v6
	v_add_nc_u32_e32 v22, 0x4bf, v31
	v_lshlrev_b64 v[13:14], 2, v[5:6]
	v_mul_u32_u24_e32 v17, 0x546, v19
	v_add_nc_u32_e32 v5, 0xa8c, v5
	v_lshlrev_b64 v[15:16], 2, v[15:16]
	v_mul_hi_u32 v24, 0xc22e4507, v22
	v_pack_b32_f16 v20, v40, v35
	v_sub_nc_u32_e32 v21, v21, v17
	v_add_co_u32 v13, vcc_lo, v0, v13
	v_add_co_ci_u32_e32 v14, vcc_lo, v1, v14, vcc_lo
	v_add_co_u32 v15, vcc_lo, v0, v15
	v_lshlrev_b64 v[17:18], 2, v[5:6]
	v_mad_u32_u24 v5, 0xfd2, v19, v21
	v_add_co_ci_u32_e32 v16, vcc_lo, v1, v16, vcc_lo
	v_pack_b32_f16 v23, v28, v32
	v_lshrrev_b32_e32 v19, 10, v24
	global_store_dword v[13:14], v20, off
	global_store_dword v[15:16], v23, off
	v_lshlrev_b64 v[15:16], 2, v[5:6]
	v_add_co_u32 v13, vcc_lo, v0, v17
	v_mul_u32_u24_e32 v21, 0x546, v19
	v_add_co_ci_u32_e32 v14, vcc_lo, v1, v18, vcc_lo
	v_add_nc_u32_e32 v17, 0x546, v5
	v_mov_b32_e32 v18, v6
	v_add_co_u32 v15, vcc_lo, v0, v15
	v_pack_b32_f16 v20, v48, v52
	v_add_nc_u32_e32 v5, 0xa8c, v5
	v_sub_nc_u32_e32 v21, v22, v21
	v_add_co_ci_u32_e32 v16, vcc_lo, v1, v16, vcc_lo
	v_pack_b32_f16 v23, v29, v37
	v_lshlrev_b64 v[17:18], 2, v[17:18]
	global_store_dword v[13:14], v20, off
	global_store_dword v[15:16], v23, off
	v_lshlrev_b64 v[13:14], 2, v[5:6]
	v_mad_u32_u24 v5, 0xfd2, v19, v21
	v_add_co_u32 v15, vcc_lo, v0, v17
	v_add_co_ci_u32_e32 v16, vcc_lo, v1, v18, vcc_lo
	v_add_nc_u32_e32 v17, 0x546, v5
	v_mov_b32_e32 v18, v6
	v_pack_b32_f16 v19, v11, v10
	v_lshlrev_b64 v[10:11], 2, v[5:6]
	v_add_nc_u32_e32 v5, 0xa8c, v5
	v_add_co_u32 v13, vcc_lo, v0, v13
	v_lshlrev_b64 v[17:18], 2, v[17:18]
	v_add_co_ci_u32_e32 v14, vcc_lo, v1, v14, vcc_lo
	v_add_co_u32 v10, vcc_lo, v0, v10
	v_pack_b32_f16 v20, v7, v4
	v_lshlrev_b64 v[4:5], 2, v[5:6]
	v_add_co_ci_u32_e32 v11, vcc_lo, v1, v11, vcc_lo
	v_add_co_u32 v6, vcc_lo, v0, v17
	v_pack_b32_f16 v12, v26, v12
	v_add_co_ci_u32_e32 v7, vcc_lo, v1, v18, vcc_lo
	v_add_co_u32 v0, vcc_lo, v0, v4
	v_pack_b32_f16 v2, v3, v2
	v_add_co_ci_u32_e32 v1, vcc_lo, v1, v5, vcc_lo
	v_pack_b32_f16 v3, v9, v8
	global_store_dword v[15:16], v19, off
	global_store_dword v[13:14], v12, off
	;; [unrolled: 1-line block ×5, first 2 shown]
.LBB0_15:
	s_endpgm
	.section	.rodata,"a",@progbits
	.p2align	6, 0x0
	.amdhsa_kernel fft_rtc_back_len4050_factors_10_5_3_3_3_3_wgs_135_tpt_135_halfLds_half_op_CI_CI_unitstride_sbrr_dirReg
		.amdhsa_group_segment_fixed_size 0
		.amdhsa_private_segment_fixed_size 0
		.amdhsa_kernarg_size 104
		.amdhsa_user_sgpr_count 6
		.amdhsa_user_sgpr_private_segment_buffer 1
		.amdhsa_user_sgpr_dispatch_ptr 0
		.amdhsa_user_sgpr_queue_ptr 0
		.amdhsa_user_sgpr_kernarg_segment_ptr 1
		.amdhsa_user_sgpr_dispatch_id 0
		.amdhsa_user_sgpr_flat_scratch_init 0
		.amdhsa_user_sgpr_private_segment_size 0
		.amdhsa_wavefront_size32 1
		.amdhsa_uses_dynamic_stack 0
		.amdhsa_system_sgpr_private_segment_wavefront_offset 0
		.amdhsa_system_sgpr_workgroup_id_x 1
		.amdhsa_system_sgpr_workgroup_id_y 0
		.amdhsa_system_sgpr_workgroup_id_z 0
		.amdhsa_system_sgpr_workgroup_info 0
		.amdhsa_system_vgpr_workitem_id 0
		.amdhsa_next_free_vgpr 130
		.amdhsa_next_free_sgpr 27
		.amdhsa_reserve_vcc 1
		.amdhsa_reserve_flat_scratch 0
		.amdhsa_float_round_mode_32 0
		.amdhsa_float_round_mode_16_64 0
		.amdhsa_float_denorm_mode_32 3
		.amdhsa_float_denorm_mode_16_64 3
		.amdhsa_dx10_clamp 1
		.amdhsa_ieee_mode 1
		.amdhsa_fp16_overflow 0
		.amdhsa_workgroup_processor_mode 1
		.amdhsa_memory_ordered 1
		.amdhsa_forward_progress 0
		.amdhsa_shared_vgpr_count 0
		.amdhsa_exception_fp_ieee_invalid_op 0
		.amdhsa_exception_fp_denorm_src 0
		.amdhsa_exception_fp_ieee_div_zero 0
		.amdhsa_exception_fp_ieee_overflow 0
		.amdhsa_exception_fp_ieee_underflow 0
		.amdhsa_exception_fp_ieee_inexact 0
		.amdhsa_exception_int_div_zero 0
	.end_amdhsa_kernel
	.text
.Lfunc_end0:
	.size	fft_rtc_back_len4050_factors_10_5_3_3_3_3_wgs_135_tpt_135_halfLds_half_op_CI_CI_unitstride_sbrr_dirReg, .Lfunc_end0-fft_rtc_back_len4050_factors_10_5_3_3_3_3_wgs_135_tpt_135_halfLds_half_op_CI_CI_unitstride_sbrr_dirReg
                                        ; -- End function
	.section	.AMDGPU.csdata,"",@progbits
; Kernel info:
; codeLenInByte = 22516
; NumSgprs: 29
; NumVgprs: 130
; ScratchSize: 0
; MemoryBound: 0
; FloatMode: 240
; IeeeMode: 1
; LDSByteSize: 0 bytes/workgroup (compile time only)
; SGPRBlocks: 3
; VGPRBlocks: 16
; NumSGPRsForWavesPerEU: 29
; NumVGPRsForWavesPerEU: 130
; Occupancy: 7
; WaveLimiterHint : 1
; COMPUTE_PGM_RSRC2:SCRATCH_EN: 0
; COMPUTE_PGM_RSRC2:USER_SGPR: 6
; COMPUTE_PGM_RSRC2:TRAP_HANDLER: 0
; COMPUTE_PGM_RSRC2:TGID_X_EN: 1
; COMPUTE_PGM_RSRC2:TGID_Y_EN: 0
; COMPUTE_PGM_RSRC2:TGID_Z_EN: 0
; COMPUTE_PGM_RSRC2:TIDIG_COMP_CNT: 0
	.text
	.p2alignl 6, 3214868480
	.fill 48, 4, 3214868480
	.type	__hip_cuid_dff68545bf03af0d,@object ; @__hip_cuid_dff68545bf03af0d
	.section	.bss,"aw",@nobits
	.globl	__hip_cuid_dff68545bf03af0d
__hip_cuid_dff68545bf03af0d:
	.byte	0                               ; 0x0
	.size	__hip_cuid_dff68545bf03af0d, 1

	.ident	"AMD clang version 19.0.0git (https://github.com/RadeonOpenCompute/llvm-project roc-6.4.0 25133 c7fe45cf4b819c5991fe208aaa96edf142730f1d)"
	.section	".note.GNU-stack","",@progbits
	.addrsig
	.addrsig_sym __hip_cuid_dff68545bf03af0d
	.amdgpu_metadata
---
amdhsa.kernels:
  - .args:
      - .actual_access:  read_only
        .address_space:  global
        .offset:         0
        .size:           8
        .value_kind:     global_buffer
      - .offset:         8
        .size:           8
        .value_kind:     by_value
      - .actual_access:  read_only
        .address_space:  global
        .offset:         16
        .size:           8
        .value_kind:     global_buffer
      - .actual_access:  read_only
        .address_space:  global
        .offset:         24
        .size:           8
        .value_kind:     global_buffer
      - .actual_access:  read_only
        .address_space:  global
        .offset:         32
        .size:           8
        .value_kind:     global_buffer
      - .offset:         40
        .size:           8
        .value_kind:     by_value
      - .actual_access:  read_only
        .address_space:  global
        .offset:         48
        .size:           8
        .value_kind:     global_buffer
      - .actual_access:  read_only
        .address_space:  global
        .offset:         56
        .size:           8
        .value_kind:     global_buffer
      - .offset:         64
        .size:           4
        .value_kind:     by_value
      - .actual_access:  read_only
        .address_space:  global
        .offset:         72
        .size:           8
        .value_kind:     global_buffer
      - .actual_access:  read_only
        .address_space:  global
        .offset:         80
        .size:           8
        .value_kind:     global_buffer
      - .actual_access:  read_only
        .address_space:  global
        .offset:         88
        .size:           8
        .value_kind:     global_buffer
      - .actual_access:  write_only
        .address_space:  global
        .offset:         96
        .size:           8
        .value_kind:     global_buffer
    .group_segment_fixed_size: 0
    .kernarg_segment_align: 8
    .kernarg_segment_size: 104
    .language:       OpenCL C
    .language_version:
      - 2
      - 0
    .max_flat_workgroup_size: 135
    .name:           fft_rtc_back_len4050_factors_10_5_3_3_3_3_wgs_135_tpt_135_halfLds_half_op_CI_CI_unitstride_sbrr_dirReg
    .private_segment_fixed_size: 0
    .sgpr_count:     29
    .sgpr_spill_count: 0
    .symbol:         fft_rtc_back_len4050_factors_10_5_3_3_3_3_wgs_135_tpt_135_halfLds_half_op_CI_CI_unitstride_sbrr_dirReg.kd
    .uniform_work_group_size: 1
    .uses_dynamic_stack: false
    .vgpr_count:     130
    .vgpr_spill_count: 0
    .wavefront_size: 32
    .workgroup_processor_mode: 1
amdhsa.target:   amdgcn-amd-amdhsa--gfx1030
amdhsa.version:
  - 1
  - 2
...

	.end_amdgpu_metadata
